;; amdgpu-corpus repo=pytorch/pytorch kind=compiled arch=gfx1250 opt=O3
	.amdgcn_target "amdgcn-amd-amdhsa--gfx1250"
	.amdhsa_code_object_version 6
	.section	.text._ZN2at6native12_GLOBAL__N_119adaptiveaveragepoolIddEEvPKT_PS3_iiiiiilllllll,"axG",@progbits,_ZN2at6native12_GLOBAL__N_119adaptiveaveragepoolIddEEvPKT_PS3_iiiiiilllllll,comdat
	.globl	_ZN2at6native12_GLOBAL__N_119adaptiveaveragepoolIddEEvPKT_PS3_iiiiiilllllll ; -- Begin function _ZN2at6native12_GLOBAL__N_119adaptiveaveragepoolIddEEvPKT_PS3_iiiiiilllllll
	.p2align	8
	.type	_ZN2at6native12_GLOBAL__N_119adaptiveaveragepoolIddEEvPKT_PS3_iiiiiilllllll,@function
_ZN2at6native12_GLOBAL__N_119adaptiveaveragepoolIddEEvPKT_PS3_iiiiiilllllll: ; @_ZN2at6native12_GLOBAL__N_119adaptiveaveragepoolIddEEvPKT_PS3_iiiiiilllllll
; %bb.0:
	s_clause 0x2
	s_load_b64 s[2:3], s[0:1], 0x58
	s_load_b128 s[12:15], s[0:1], 0x10
	s_load_b64 s[20:21], s[0:1], 0x20
	s_bfe_u32 s4, ttmp6, 0x4000c
	s_and_b32 s5, ttmp6, 15
	s_add_co_i32 s4, s4, 1
	s_getreg_b32 s28, hwreg(HW_REG_IB_STS2, 6, 4)
	s_mul_i32 s4, ttmp9, s4
	s_mov_b32 s7, 0
	s_add_co_i32 s5, s5, s4
	s_cmp_eq_u32 s28, 0
	s_cselect_b32 s6, ttmp9, s5
	s_wait_kmcnt 0x0
	s_add_nc_u64 s[2:3], s[2:3], s[6:7]
	s_ashr_i32 s5, s15, 31
	s_mov_b32 s4, s15
	s_delay_alu instid0(SALU_CYCLE_1) | instskip(NEXT) | instid1(SALU_CYCLE_1)
	s_or_b64 s[8:9], s[2:3], s[4:5]
	s_and_b64 s[8:9], s[8:9], 0xffffffff00000000
	s_delay_alu instid0(SALU_CYCLE_1)
	s_cmp_lg_u64 s[8:9], 0
	s_cbranch_scc0 .LBB0_54
; %bb.1:
	s_ashr_i32 s8, s5, 31
	s_delay_alu instid0(SALU_CYCLE_1) | instskip(NEXT) | instid1(SALU_CYCLE_1)
	s_mov_b32 s9, s8
	s_add_nc_u64 s[10:11], s[4:5], s[8:9]
	s_delay_alu instid0(SALU_CYCLE_1) | instskip(NEXT) | instid1(SALU_CYCLE_1)
	s_xor_b64 s[10:11], s[10:11], s[8:9]
	s_cvt_f32_u32 s6, s10
	s_cvt_f32_u32 s15, s11
	s_sub_nc_u64 s[18:19], 0, s[10:11]
	s_delay_alu instid0(SALU_CYCLE_2) | instskip(NEXT) | instid1(SALU_CYCLE_3)
	s_fmamk_f32 s6, s15, 0x4f800000, s6
	v_s_rcp_f32 s6, s6
	s_delay_alu instid0(TRANS32_DEP_1) | instskip(NEXT) | instid1(SALU_CYCLE_3)
	s_mul_f32 s6, s6, 0x5f7ffffc
	s_mul_f32 s15, s6, 0x2f800000
	s_delay_alu instid0(SALU_CYCLE_3) | instskip(NEXT) | instid1(SALU_CYCLE_3)
	s_trunc_f32 s15, s15
	s_fmamk_f32 s6, s15, 0xcf800000, s6
	s_cvt_u32_f32 s17, s15
	s_delay_alu instid0(SALU_CYCLE_2) | instskip(NEXT) | instid1(SALU_CYCLE_3)
	s_cvt_u32_f32 s16, s6
	s_mul_u64 s[22:23], s[18:19], s[16:17]
	s_delay_alu instid0(SALU_CYCLE_1)
	s_mul_hi_u32 s25, s16, s23
	s_mul_i32 s24, s16, s23
	s_mul_hi_u32 s6, s16, s22
	s_mul_i32 s26, s17, s22
	s_add_nc_u64 s[24:25], s[6:7], s[24:25]
	s_mul_hi_u32 s15, s17, s22
	s_mul_hi_u32 s27, s17, s23
	s_add_co_u32 s6, s24, s26
	s_add_co_ci_u32 s6, s25, s15
	s_mul_i32 s22, s17, s23
	s_add_co_ci_u32 s23, s27, 0
	s_delay_alu instid0(SALU_CYCLE_1) | instskip(NEXT) | instid1(SALU_CYCLE_1)
	s_add_nc_u64 s[22:23], s[6:7], s[22:23]
	s_add_co_u32 s16, s16, s22
	s_cselect_b32 s6, -1, 0
	s_delay_alu instid0(SALU_CYCLE_1) | instskip(SKIP_1) | instid1(SALU_CYCLE_1)
	s_cmp_lg_u32 s6, 0
	s_add_co_ci_u32 s17, s17, s23
	s_mul_u64 s[18:19], s[18:19], s[16:17]
	s_delay_alu instid0(SALU_CYCLE_1)
	s_mul_hi_u32 s23, s16, s19
	s_mul_i32 s22, s16, s19
	s_mul_hi_u32 s6, s16, s18
	s_mul_i32 s24, s17, s18
	s_add_nc_u64 s[22:23], s[6:7], s[22:23]
	s_mul_hi_u32 s15, s17, s18
	s_mul_hi_u32 s25, s17, s19
	s_add_co_u32 s6, s22, s24
	s_add_co_ci_u32 s6, s23, s15
	s_mul_i32 s18, s17, s19
	s_add_co_ci_u32 s19, s25, 0
	s_delay_alu instid0(SALU_CYCLE_1) | instskip(NEXT) | instid1(SALU_CYCLE_1)
	s_add_nc_u64 s[18:19], s[6:7], s[18:19]
	s_add_co_u32 s15, s16, s18
	s_cselect_b32 s6, -1, 0
	s_delay_alu instid0(SALU_CYCLE_1) | instskip(SKIP_2) | instid1(SALU_CYCLE_1)
	s_cmp_lg_u32 s6, 0
	s_add_co_ci_u32 s24, s17, s19
	s_ashr_i32 s16, s3, 31
	s_mov_b32 s17, s16
	s_delay_alu instid0(SALU_CYCLE_1) | instskip(NEXT) | instid1(SALU_CYCLE_1)
	s_add_nc_u64 s[18:19], s[2:3], s[16:17]
	s_xor_b64 s[18:19], s[18:19], s[16:17]
	s_delay_alu instid0(SALU_CYCLE_1)
	s_mul_hi_u32 s23, s18, s24
	s_mul_i32 s22, s18, s24
	s_mul_hi_u32 s6, s18, s15
	s_mul_hi_u32 s26, s19, s15
	s_mul_i32 s15, s19, s15
	s_add_nc_u64 s[22:23], s[6:7], s[22:23]
	s_mul_hi_u32 s25, s19, s24
	s_add_co_u32 s6, s22, s15
	s_add_co_ci_u32 s6, s23, s26
	s_mul_i32 s24, s19, s24
	s_add_co_ci_u32 s25, s25, 0
	s_delay_alu instid0(SALU_CYCLE_1) | instskip(NEXT) | instid1(SALU_CYCLE_1)
	s_add_nc_u64 s[22:23], s[6:7], s[24:25]
	s_and_b64 s[24:25], s[22:23], 0xffffffff00000000
	s_delay_alu instid0(SALU_CYCLE_1) | instskip(NEXT) | instid1(SALU_CYCLE_1)
	s_or_b32 s24, s24, s22
	s_mul_u64 s[22:23], s[10:11], s[24:25]
	s_add_nc_u64 s[30:31], s[24:25], 2
	s_sub_co_u32 s6, s18, s22
	s_cselect_b32 s15, -1, 0
	s_sub_co_i32 s18, s19, s23
	s_cmp_lg_u32 s15, 0
	s_sub_co_ci_u32 s18, s18, s11
	s_sub_co_u32 s22, s6, s10
	s_cselect_b32 s26, -1, 0
	s_delay_alu instid0(SALU_CYCLE_1) | instskip(SKIP_2) | instid1(SALU_CYCLE_1)
	s_cmp_lg_u32 s26, 0
	s_add_nc_u64 s[26:27], s[24:25], 1
	s_sub_co_ci_u32 s18, s18, 0
	s_cmp_ge_u32 s18, s11
	s_cselect_b32 s29, -1, 0
	s_cmp_ge_u32 s22, s10
	s_cselect_b32 s22, -1, 0
	s_cmp_eq_u32 s18, s11
	s_cselect_b32 s18, s22, s29
	s_delay_alu instid0(SALU_CYCLE_1) | instskip(SKIP_4) | instid1(SALU_CYCLE_1)
	s_cmp_lg_u32 s18, 0
	s_cselect_b32 s18, s30, s26
	s_cselect_b32 s22, s31, s27
	s_cmp_lg_u32 s15, 0
	s_sub_co_ci_u32 s15, s19, s23
	s_cmp_ge_u32 s15, s11
	s_cselect_b32 s19, -1, 0
	s_cmp_ge_u32 s6, s10
	s_cselect_b32 s6, -1, 0
	s_cmp_eq_u32 s15, s11
	s_cselect_b32 s6, s6, s19
	s_delay_alu instid0(SALU_CYCLE_1) | instskip(SKIP_3) | instid1(SALU_CYCLE_1)
	s_cmp_lg_u32 s6, 0
	s_cselect_b32 s11, s22, s25
	s_cselect_b32 s10, s18, s24
	s_xor_b64 s[8:9], s[16:17], s[8:9]
	s_xor_b64 s[10:11], s[10:11], s[8:9]
	s_delay_alu instid0(SALU_CYCLE_1)
	s_sub_nc_u64 s[22:23], s[10:11], s[8:9]
	s_and_not1_b32 vcc_lo, exec_lo, s7
	s_cbranch_vccnz .LBB0_3
.LBB0_2:
	v_cvt_f32_u32_e32 v1, s4
	s_sub_co_i32 s7, 0, s4
	s_mov_b32 s23, 0
	s_delay_alu instid0(VALU_DEP_1) | instskip(SKIP_1) | instid1(TRANS32_DEP_1)
	v_rcp_iflag_f32_e32 v1, v1
	v_nop
	v_mul_f32_e32 v1, 0x4f7ffffe, v1
	s_delay_alu instid0(VALU_DEP_1) | instskip(NEXT) | instid1(VALU_DEP_1)
	v_cvt_u32_f32_e32 v1, v1
	v_readfirstlane_b32 s6, v1
	s_mul_i32 s7, s7, s6
	s_delay_alu instid0(SALU_CYCLE_1) | instskip(NEXT) | instid1(SALU_CYCLE_1)
	s_mul_hi_u32 s7, s6, s7
	s_add_co_i32 s6, s6, s7
	s_delay_alu instid0(SALU_CYCLE_1) | instskip(NEXT) | instid1(SALU_CYCLE_1)
	s_mul_hi_u32 s6, s2, s6
	s_mul_i32 s7, s6, s4
	s_add_co_i32 s8, s6, 1
	s_sub_co_i32 s7, s2, s7
	s_delay_alu instid0(SALU_CYCLE_1)
	s_sub_co_i32 s9, s7, s4
	s_cmp_ge_u32 s7, s4
	s_cselect_b32 s6, s8, s6
	s_cselect_b32 s7, s9, s7
	s_add_co_i32 s8, s6, 1
	s_cmp_ge_u32 s7, s4
	s_cselect_b32 s22, s8, s6
.LBB0_3:
	s_abs_i32 s8, s4
	s_ashr_i32 s25, s12, 31
	s_cvt_f32_u32 s6, s8
	s_sub_co_i32 s10, 0, s8
	s_mov_b32 s24, s12
	s_delay_alu instid0(SALU_CYCLE_1) | instskip(SKIP_1) | instid1(TRANS32_DEP_1)
	v_rcp_iflag_f32_e32 v1, s6
	v_nop
	v_readfirstlane_b32 s6, v1
	s_mul_f32 s6, s6, 0x4f7ffffe
	s_delay_alu instid0(SALU_CYCLE_3) | instskip(SKIP_1) | instid1(SALU_CYCLE_1)
	s_cvt_u32_f32 s9, s6
	s_mul_u64 s[6:7], s[22:23], s[4:5]
	s_sub_nc_u64 s[6:7], s[2:3], s[6:7]
	s_delay_alu instid0(SALU_CYCLE_1) | instskip(SKIP_2) | instid1(SALU_CYCLE_1)
	s_mul_i32 s10, s10, s9
	s_abs_i32 s11, s6
	s_mul_hi_u32 s10, s9, s10
	s_add_co_i32 s9, s9, s10
	s_xor_b32 s10, s6, s4
	s_mul_hi_u32 s9, s11, s9
	s_ashr_i32 s10, s10, 31
	s_mul_i32 s15, s9, s8
	s_delay_alu instid0(SALU_CYCLE_1)
	s_sub_co_i32 s11, s11, s15
	s_add_co_i32 s15, s9, 1
	s_sub_co_i32 s16, s11, s8
	s_cmp_ge_u32 s11, s8
	s_cselect_b32 s9, s15, s9
	s_cselect_b32 s11, s16, s11
	s_add_co_i32 s15, s9, 1
	s_cmp_ge_u32 s11, s8
	s_cselect_b32 s8, s15, s9
	s_delay_alu instid0(SALU_CYCLE_1) | instskip(NEXT) | instid1(SALU_CYCLE_1)
	s_xor_b32 s8, s8, s10
	s_sub_co_i32 s15, s8, s10
	s_delay_alu instid0(SALU_CYCLE_1) | instskip(NEXT) | instid1(SALU_CYCLE_1)
	s_mul_i32 s8, s15, s4
	s_sub_co_i32 s8, s6, s8
	s_delay_alu instid0(SALU_CYCLE_1) | instskip(NEXT) | instid1(SALU_CYCLE_1)
	s_ashr_i32 s9, s8, 31
	s_mul_u64 s[8:9], s[8:9], s[24:25]
	s_delay_alu instid0(SALU_CYCLE_1) | instskip(NEXT) | instid1(SALU_CYCLE_1)
	s_or_b64 s[10:11], s[8:9], s[4:5]
	s_and_b64 s[10:11], s[10:11], 0xffffffff00000000
	s_delay_alu instid0(SALU_CYCLE_1)
	s_cmp_lg_u64 s[10:11], 0
	s_mov_b32 s11, 0
	s_cbranch_scc0 .LBB0_55
; %bb.4:
	s_ashr_i32 s16, s5, 31
	s_delay_alu instid0(SALU_CYCLE_1) | instskip(NEXT) | instid1(SALU_CYCLE_1)
	s_mov_b32 s17, s16
	s_add_nc_u64 s[18:19], s[4:5], s[16:17]
	s_delay_alu instid0(SALU_CYCLE_1) | instskip(NEXT) | instid1(SALU_CYCLE_1)
	s_xor_b64 s[18:19], s[18:19], s[16:17]
	s_cvt_f32_u32 s10, s18
	s_cvt_f32_u32 s12, s19
	s_sub_nc_u64 s[30:31], 0, s[18:19]
	s_delay_alu instid0(SALU_CYCLE_2) | instskip(NEXT) | instid1(SALU_CYCLE_3)
	s_fmamk_f32 s10, s12, 0x4f800000, s10
	v_s_rcp_f32 s10, s10
	s_delay_alu instid0(TRANS32_DEP_1) | instskip(NEXT) | instid1(SALU_CYCLE_3)
	s_mul_f32 s10, s10, 0x5f7ffffc
	s_mul_f32 s12, s10, 0x2f800000
	s_delay_alu instid0(SALU_CYCLE_3) | instskip(NEXT) | instid1(SALU_CYCLE_3)
	s_trunc_f32 s12, s12
	s_fmamk_f32 s10, s12, 0xcf800000, s10
	s_cvt_u32_f32 s27, s12
	s_delay_alu instid0(SALU_CYCLE_2) | instskip(NEXT) | instid1(SALU_CYCLE_3)
	s_cvt_u32_f32 s26, s10
	s_mul_u64 s[34:35], s[30:31], s[26:27]
	s_delay_alu instid0(SALU_CYCLE_1)
	s_mul_hi_u32 s37, s26, s35
	s_mul_i32 s36, s26, s35
	s_mul_hi_u32 s10, s26, s34
	s_mul_i32 s29, s27, s34
	s_add_nc_u64 s[36:37], s[10:11], s[36:37]
	s_mul_hi_u32 s12, s27, s34
	s_mul_hi_u32 s33, s27, s35
	s_add_co_u32 s10, s36, s29
	s_add_co_ci_u32 s10, s37, s12
	s_mul_i32 s34, s27, s35
	s_add_co_ci_u32 s35, s33, 0
	s_delay_alu instid0(SALU_CYCLE_1) | instskip(NEXT) | instid1(SALU_CYCLE_1)
	s_add_nc_u64 s[34:35], s[10:11], s[34:35]
	s_add_co_u32 s26, s26, s34
	s_cselect_b32 s10, -1, 0
	s_delay_alu instid0(SALU_CYCLE_1) | instskip(SKIP_1) | instid1(SALU_CYCLE_1)
	s_cmp_lg_u32 s10, 0
	s_add_co_ci_u32 s27, s27, s35
	s_mul_u64 s[30:31], s[30:31], s[26:27]
	s_delay_alu instid0(SALU_CYCLE_1)
	s_mul_hi_u32 s35, s26, s31
	s_mul_i32 s34, s26, s31
	s_mul_hi_u32 s10, s26, s30
	s_mul_i32 s29, s27, s30
	s_add_nc_u64 s[34:35], s[10:11], s[34:35]
	s_mul_hi_u32 s12, s27, s30
	s_mul_hi_u32 s33, s27, s31
	s_add_co_u32 s10, s34, s29
	s_add_co_ci_u32 s10, s35, s12
	s_mul_i32 s30, s27, s31
	s_add_co_ci_u32 s31, s33, 0
	s_delay_alu instid0(SALU_CYCLE_1) | instskip(NEXT) | instid1(SALU_CYCLE_1)
	s_add_nc_u64 s[30:31], s[10:11], s[30:31]
	s_add_co_u32 s12, s26, s30
	s_cselect_b32 s10, -1, 0
	s_delay_alu instid0(SALU_CYCLE_1) | instskip(SKIP_2) | instid1(SALU_CYCLE_1)
	s_cmp_lg_u32 s10, 0
	s_add_co_ci_u32 s29, s27, s31
	s_ashr_i32 s26, s9, 31
	s_mov_b32 s27, s26
	s_delay_alu instid0(SALU_CYCLE_1) | instskip(NEXT) | instid1(SALU_CYCLE_1)
	s_add_nc_u64 s[30:31], s[8:9], s[26:27]
	s_xor_b64 s[30:31], s[30:31], s[26:27]
	s_delay_alu instid0(SALU_CYCLE_1)
	s_mul_hi_u32 s35, s30, s29
	s_mul_i32 s34, s30, s29
	s_mul_hi_u32 s10, s30, s12
	s_mul_hi_u32 s33, s31, s12
	s_mul_i32 s12, s31, s12
	s_add_nc_u64 s[34:35], s[10:11], s[34:35]
	s_mul_hi_u32 s9, s31, s29
	s_add_co_u32 s10, s34, s12
	s_add_co_ci_u32 s10, s35, s33
	s_mul_i32 s36, s31, s29
	s_add_co_ci_u32 s37, s9, 0
	s_delay_alu instid0(SALU_CYCLE_1) | instskip(NEXT) | instid1(SALU_CYCLE_1)
	s_add_nc_u64 s[34:35], s[10:11], s[36:37]
	s_and_b64 s[36:37], s[34:35], 0xffffffff00000000
	s_delay_alu instid0(SALU_CYCLE_1) | instskip(NEXT) | instid1(SALU_CYCLE_1)
	s_or_b32 s36, s36, s34
	s_mul_u64 s[34:35], s[18:19], s[36:37]
	s_add_nc_u64 s[38:39], s[36:37], 1
	s_sub_co_u32 s9, s30, s34
	s_cselect_b32 s10, -1, 0
	s_sub_co_i32 s12, s31, s35
	s_cmp_lg_u32 s10, 0
	s_add_nc_u64 s[40:41], s[36:37], 2
	s_sub_co_ci_u32 s12, s12, s19
	s_sub_co_u32 s29, s9, s18
	s_cselect_b32 s30, -1, 0
	s_delay_alu instid0(SALU_CYCLE_1) | instskip(SKIP_1) | instid1(SALU_CYCLE_1)
	s_cmp_lg_u32 s30, 0
	s_sub_co_ci_u32 s12, s12, 0
	s_cmp_ge_u32 s12, s19
	s_cselect_b32 s30, -1, 0
	s_cmp_ge_u32 s29, s18
	s_cselect_b32 s29, -1, 0
	s_cmp_eq_u32 s12, s19
	s_cselect_b32 s12, s29, s30
	s_delay_alu instid0(SALU_CYCLE_1) | instskip(SKIP_4) | instid1(SALU_CYCLE_1)
	s_cmp_lg_u32 s12, 0
	s_cselect_b32 s12, s40, s38
	s_cselect_b32 s29, s41, s39
	s_cmp_lg_u32 s10, 0
	s_sub_co_ci_u32 s10, s31, s35
	s_cmp_ge_u32 s10, s19
	s_cselect_b32 s30, -1, 0
	s_cmp_ge_u32 s9, s18
	s_cselect_b32 s9, -1, 0
	s_cmp_eq_u32 s10, s19
	s_cselect_b32 s9, s9, s30
	s_delay_alu instid0(SALU_CYCLE_1) | instskip(SKIP_3) | instid1(SALU_CYCLE_1)
	s_cmp_lg_u32 s9, 0
	s_cselect_b32 s19, s29, s37
	s_cselect_b32 s18, s12, s36
	s_xor_b64 s[16:17], s[26:27], s[16:17]
	s_xor_b64 s[18:19], s[18:19], s[16:17]
	s_delay_alu instid0(SALU_CYCLE_1)
	s_sub_nc_u64 s[26:27], s[18:19], s[16:17]
	s_and_not1_b32 vcc_lo, exec_lo, s11
	s_cbranch_vccnz .LBB0_6
.LBB0_5:
	v_cvt_f32_u32_e32 v1, s4
	s_sub_co_i32 s10, 0, s4
	s_delay_alu instid0(VALU_DEP_1) | instskip(SKIP_1) | instid1(TRANS32_DEP_1)
	v_rcp_iflag_f32_e32 v1, v1
	v_nop
	v_mul_f32_e32 v1, 0x4f7ffffe, v1
	s_delay_alu instid0(VALU_DEP_1) | instskip(NEXT) | instid1(VALU_DEP_1)
	v_cvt_u32_f32_e32 v1, v1
	v_readfirstlane_b32 s9, v1
	s_mul_i32 s10, s10, s9
	s_delay_alu instid0(SALU_CYCLE_1) | instskip(NEXT) | instid1(SALU_CYCLE_1)
	s_mul_hi_u32 s10, s9, s10
	s_add_co_i32 s9, s9, s10
	s_delay_alu instid0(SALU_CYCLE_1) | instskip(NEXT) | instid1(SALU_CYCLE_1)
	s_mul_hi_u32 s9, s8, s9
	s_mul_i32 s10, s9, s4
	s_delay_alu instid0(SALU_CYCLE_1)
	s_sub_co_i32 s8, s8, s10
	s_add_co_i32 s10, s9, 1
	s_sub_co_i32 s11, s8, s4
	s_cmp_ge_u32 s8, s4
	s_cselect_b32 s9, s10, s9
	s_cselect_b32 s8, s11, s8
	s_add_co_i32 s10, s9, 1
	s_cmp_ge_u32 s8, s4
	s_cselect_b32 s26, s10, s9
.LBB0_6:
	s_add_nc_u64 s[6:7], s[6:7], 1
	s_delay_alu instid0(SALU_CYCLE_1) | instskip(NEXT) | instid1(SALU_CYCLE_1)
	s_mul_u64 s[6:7], s[6:7], s[24:25]
	s_add_nc_u64 s[6:7], s[6:7], -1
	s_delay_alu instid0(SALU_CYCLE_1) | instskip(NEXT) | instid1(SALU_CYCLE_1)
	s_or_b64 s[8:9], s[6:7], s[4:5]
	s_and_b64 s[8:9], s[8:9], 0xffffffff00000000
	s_delay_alu instid0(SALU_CYCLE_1)
	s_cmp_lg_u64 s[8:9], 0
	s_cbranch_scc0 .LBB0_56
; %bb.7:
	s_ashr_i32 s8, s5, 31
	s_delay_alu instid0(SALU_CYCLE_1) | instskip(NEXT) | instid1(SALU_CYCLE_1)
	s_mov_b32 s9, s8
	s_add_nc_u64 s[10:11], s[4:5], s[8:9]
	s_delay_alu instid0(SALU_CYCLE_1) | instskip(SKIP_4) | instid1(SALU_CYCLE_2)
	s_xor_b64 s[16:17], s[10:11], s[8:9]
	s_mov_b32 s11, 0
	s_cvt_f32_u32 s5, s16
	s_cvt_f32_u32 s10, s17
	s_sub_nc_u64 s[30:31], 0, s[16:17]
	s_fmamk_f32 s5, s10, 0x4f800000, s5
	s_delay_alu instid0(SALU_CYCLE_3) | instskip(NEXT) | instid1(TRANS32_DEP_1)
	v_s_rcp_f32 s5, s5
	s_mul_f32 s5, s5, 0x5f7ffffc
	s_delay_alu instid0(SALU_CYCLE_3) | instskip(NEXT) | instid1(SALU_CYCLE_3)
	s_mul_f32 s10, s5, 0x2f800000
	s_trunc_f32 s10, s10
	s_delay_alu instid0(SALU_CYCLE_3) | instskip(SKIP_1) | instid1(SALU_CYCLE_2)
	s_fmamk_f32 s5, s10, 0xcf800000, s5
	s_cvt_u32_f32 s19, s10
	s_cvt_u32_f32 s18, s5
	s_delay_alu instid0(SALU_CYCLE_3) | instskip(NEXT) | instid1(SALU_CYCLE_1)
	s_mul_u64 s[34:35], s[30:31], s[18:19]
	s_mul_hi_u32 s37, s18, s35
	s_mul_i32 s36, s18, s35
	s_mul_hi_u32 s10, s18, s34
	s_mul_i32 s12, s19, s34
	s_add_nc_u64 s[36:37], s[10:11], s[36:37]
	s_mul_hi_u32 s5, s19, s34
	s_mul_hi_u32 s25, s19, s35
	s_add_co_u32 s10, s36, s12
	s_add_co_ci_u32 s10, s37, s5
	s_mul_i32 s34, s19, s35
	s_add_co_ci_u32 s35, s25, 0
	s_delay_alu instid0(SALU_CYCLE_1) | instskip(NEXT) | instid1(SALU_CYCLE_1)
	s_add_nc_u64 s[34:35], s[10:11], s[34:35]
	s_add_co_u32 s18, s18, s34
	s_cselect_b32 s5, -1, 0
	s_delay_alu instid0(SALU_CYCLE_1) | instskip(SKIP_1) | instid1(SALU_CYCLE_1)
	s_cmp_lg_u32 s5, 0
	s_add_co_ci_u32 s19, s19, s35
	s_mul_u64 s[30:31], s[30:31], s[18:19]
	s_delay_alu instid0(SALU_CYCLE_1)
	s_mul_hi_u32 s35, s18, s31
	s_mul_i32 s34, s18, s31
	s_mul_hi_u32 s10, s18, s30
	s_mul_i32 s12, s19, s30
	s_add_nc_u64 s[34:35], s[10:11], s[34:35]
	s_mul_hi_u32 s5, s19, s30
	s_mul_hi_u32 s25, s19, s31
	s_add_co_u32 s10, s34, s12
	s_add_co_ci_u32 s10, s35, s5
	s_mul_i32 s30, s19, s31
	s_add_co_ci_u32 s31, s25, 0
	s_delay_alu instid0(SALU_CYCLE_1) | instskip(NEXT) | instid1(SALU_CYCLE_1)
	s_add_nc_u64 s[30:31], s[10:11], s[30:31]
	s_add_co_u32 s5, s18, s30
	s_cselect_b32 s10, -1, 0
	s_delay_alu instid0(SALU_CYCLE_1) | instskip(SKIP_2) | instid1(SALU_CYCLE_1)
	s_cmp_lg_u32 s10, 0
	s_add_co_ci_u32 s12, s19, s31
	s_ashr_i32 s18, s7, 31
	s_mov_b32 s19, s18
	s_delay_alu instid0(SALU_CYCLE_1) | instskip(NEXT) | instid1(SALU_CYCLE_1)
	s_add_nc_u64 s[30:31], s[6:7], s[18:19]
	s_xor_b64 s[30:31], s[30:31], s[18:19]
	s_delay_alu instid0(SALU_CYCLE_1)
	s_mul_hi_u32 s35, s30, s12
	s_mul_i32 s34, s30, s12
	s_mul_hi_u32 s10, s30, s5
	s_mul_hi_u32 s25, s31, s5
	s_mul_i32 s5, s31, s5
	s_add_nc_u64 s[34:35], s[10:11], s[34:35]
	s_mul_hi_u32 s7, s31, s12
	s_add_co_u32 s5, s34, s5
	s_add_co_ci_u32 s10, s35, s25
	s_mul_i32 s36, s31, s12
	s_add_co_ci_u32 s37, s7, 0
	s_delay_alu instid0(SALU_CYCLE_1) | instskip(NEXT) | instid1(SALU_CYCLE_1)
	s_add_nc_u64 s[34:35], s[10:11], s[36:37]
	s_and_b64 s[36:37], s[34:35], 0xffffffff00000000
	s_delay_alu instid0(SALU_CYCLE_1) | instskip(NEXT) | instid1(SALU_CYCLE_1)
	s_or_b32 s36, s36, s34
	s_mul_u64 s[34:35], s[16:17], s[36:37]
	s_add_nc_u64 s[38:39], s[36:37], 1
	s_sub_co_u32 s5, s30, s34
	s_cselect_b32 s7, -1, 0
	s_sub_co_i32 s10, s31, s35
	s_cmp_lg_u32 s7, 0
	s_add_nc_u64 s[40:41], s[36:37], 2
	s_sub_co_ci_u32 s10, s10, s17
	s_sub_co_u32 s12, s5, s16
	s_cselect_b32 s25, -1, 0
	s_delay_alu instid0(SALU_CYCLE_1) | instskip(SKIP_1) | instid1(SALU_CYCLE_1)
	s_cmp_lg_u32 s25, 0
	s_sub_co_ci_u32 s10, s10, 0
	s_cmp_ge_u32 s10, s17
	s_cselect_b32 s25, -1, 0
	s_cmp_ge_u32 s12, s16
	s_cselect_b32 s12, -1, 0
	s_cmp_eq_u32 s10, s17
	s_cselect_b32 s10, s12, s25
	s_delay_alu instid0(SALU_CYCLE_1) | instskip(SKIP_4) | instid1(SALU_CYCLE_1)
	s_cmp_lg_u32 s10, 0
	s_cselect_b32 s10, s40, s38
	s_cselect_b32 s12, s41, s39
	s_cmp_lg_u32 s7, 0
	s_sub_co_ci_u32 s7, s31, s35
	s_cmp_ge_u32 s7, s17
	s_cselect_b32 s25, -1, 0
	s_cmp_ge_u32 s5, s16
	s_cselect_b32 s5, -1, 0
	s_cmp_eq_u32 s7, s17
	s_cselect_b32 s5, s5, s25
	s_delay_alu instid0(SALU_CYCLE_1) | instskip(SKIP_3) | instid1(SALU_CYCLE_1)
	s_cmp_lg_u32 s5, 0
	s_cselect_b32 s17, s12, s37
	s_cselect_b32 s16, s10, s36
	s_xor_b64 s[8:9], s[18:19], s[8:9]
	s_xor_b64 s[16:17], s[16:17], s[8:9]
	s_delay_alu instid0(SALU_CYCLE_1)
	s_sub_nc_u64 s[30:31], s[16:17], s[8:9]
	s_load_b32 s27, s[0:1], 0x6c
	s_cbranch_execnz .LBB0_9
.LBB0_8:
	v_cvt_f32_u32_e32 v1, s4
	s_sub_co_i32 s7, 0, s4
	s_delay_alu instid0(VALU_DEP_1) | instskip(SKIP_1) | instid1(TRANS32_DEP_1)
	v_rcp_iflag_f32_e32 v1, v1
	v_nop
	v_mul_f32_e32 v1, 0x4f7ffffe, v1
	s_delay_alu instid0(VALU_DEP_1) | instskip(NEXT) | instid1(VALU_DEP_1)
	v_cvt_u32_f32_e32 v1, v1
	v_readfirstlane_b32 s5, v1
	s_mul_i32 s7, s7, s5
	s_delay_alu instid0(SALU_CYCLE_1) | instskip(NEXT) | instid1(SALU_CYCLE_1)
	s_mul_hi_u32 s7, s5, s7
	s_add_co_i32 s5, s5, s7
	s_delay_alu instid0(SALU_CYCLE_1) | instskip(NEXT) | instid1(SALU_CYCLE_1)
	s_mul_hi_u32 s5, s6, s5
	s_mul_i32 s7, s5, s4
	s_delay_alu instid0(SALU_CYCLE_1)
	s_sub_co_i32 s6, s6, s7
	s_add_co_i32 s7, s5, 1
	s_sub_co_i32 s8, s6, s4
	s_cmp_ge_u32 s6, s4
	s_cselect_b32 s5, s7, s5
	s_cselect_b32 s6, s8, s6
	s_add_co_i32 s7, s5, 1
	s_cmp_ge_u32 s6, s4
	s_cselect_b32 s30, s7, s5
.LBB0_9:
	s_bfe_u32 s4, ttmp6, 0x40010
	s_bfe_u32 s5, ttmp6, 0x40004
	s_add_co_i32 s4, s4, 1
	s_wait_kmcnt 0x0
	s_lshr_b32 s12, s27, 16
	s_mul_i32 s4, ttmp7, s4
	v_bfe_u32 v1, v0, 10, 10
	s_add_co_i32 s5, s5, s4
	s_cmp_eq_u32 s28, 0
	s_cselect_b32 s4, ttmp7, s5
	s_delay_alu instid0(VALU_DEP_1) | instid1(SALU_CYCLE_1)
	v_mad_u32 v2, s4, s12, v1
	s_mov_b32 s4, exec_lo
	s_delay_alu instid0(VALU_DEP_1)
	v_cmpx_gt_i32_e64 s20, v2
	s_cbranch_execz .LBB0_53
; %bb.10:
	s_clause 0x1
	s_load_b256 s[4:11], s[0:1], 0x28
	s_load_b128 s[16:19], s[0:1], 0x48
	s_bfe_i64 s[28:29], s[22:23], 0x200000
	s_wait_kmcnt 0x0
	s_or_b64 s[34:35], s[28:29], s[4:5]
	s_delay_alu instid0(SALU_CYCLE_1) | instskip(NEXT) | instid1(SALU_CYCLE_1)
	s_and_b64 s[34:35], s[34:35], 0xffffffff00000000
	s_cmp_lg_u64 s[34:35], 0
	s_cbranch_scc0 .LBB0_57
; %bb.11:
	s_ashr_i32 s34, s5, 31
	s_delay_alu instid0(SALU_CYCLE_1) | instskip(NEXT) | instid1(SALU_CYCLE_1)
	s_mov_b32 s35, s34
	s_add_nc_u64 s[36:37], s[4:5], s[34:35]
	s_delay_alu instid0(SALU_CYCLE_1) | instskip(SKIP_4) | instid1(SALU_CYCLE_2)
	s_xor_b64 s[38:39], s[36:37], s[34:35]
	s_mov_b32 s37, 0
	s_cvt_f32_u32 s23, s38
	s_cvt_f32_u32 s25, s39
	s_sub_nc_u64 s[42:43], 0, s[38:39]
	s_fmamk_f32 s23, s25, 0x4f800000, s23
	s_delay_alu instid0(SALU_CYCLE_3) | instskip(NEXT) | instid1(TRANS32_DEP_1)
	v_s_rcp_f32 s23, s23
	s_mul_f32 s23, s23, 0x5f7ffffc
	s_delay_alu instid0(SALU_CYCLE_3) | instskip(NEXT) | instid1(SALU_CYCLE_3)
	s_mul_f32 s25, s23, 0x2f800000
	s_trunc_f32 s25, s25
	s_delay_alu instid0(SALU_CYCLE_3) | instskip(SKIP_1) | instid1(SALU_CYCLE_2)
	s_fmamk_f32 s23, s25, 0xcf800000, s23
	s_cvt_u32_f32 s41, s25
	s_cvt_u32_f32 s40, s23
	s_delay_alu instid0(SALU_CYCLE_3) | instskip(NEXT) | instid1(SALU_CYCLE_1)
	s_mul_u64 s[44:45], s[42:43], s[40:41]
	s_mul_hi_u32 s47, s40, s45
	s_mul_i32 s46, s40, s45
	s_mul_hi_u32 s36, s40, s44
	s_mul_i32 s25, s41, s44
	s_add_nc_u64 s[46:47], s[36:37], s[46:47]
	s_mul_hi_u32 s23, s41, s44
	s_mul_hi_u32 s31, s41, s45
	s_add_co_u32 s25, s46, s25
	s_add_co_ci_u32 s36, s47, s23
	s_mul_i32 s44, s41, s45
	s_add_co_ci_u32 s45, s31, 0
	s_delay_alu instid0(SALU_CYCLE_1) | instskip(NEXT) | instid1(SALU_CYCLE_1)
	s_add_nc_u64 s[44:45], s[36:37], s[44:45]
	s_add_co_u32 s40, s40, s44
	s_cselect_b32 s23, -1, 0
	s_delay_alu instid0(SALU_CYCLE_1) | instskip(SKIP_1) | instid1(SALU_CYCLE_1)
	s_cmp_lg_u32 s23, 0
	s_add_co_ci_u32 s41, s41, s45
	s_mul_u64 s[42:43], s[42:43], s[40:41]
	s_delay_alu instid0(SALU_CYCLE_1)
	s_mul_hi_u32 s45, s40, s43
	s_mul_i32 s44, s40, s43
	s_mul_hi_u32 s36, s40, s42
	s_mul_i32 s25, s41, s42
	s_add_nc_u64 s[44:45], s[36:37], s[44:45]
	s_mul_hi_u32 s23, s41, s42
	s_mul_hi_u32 s31, s41, s43
	s_add_co_u32 s25, s44, s25
	s_add_co_ci_u32 s36, s45, s23
	s_mul_i32 s42, s41, s43
	s_add_co_ci_u32 s43, s31, 0
	s_delay_alu instid0(SALU_CYCLE_1) | instskip(NEXT) | instid1(SALU_CYCLE_1)
	s_add_nc_u64 s[42:43], s[36:37], s[42:43]
	s_add_co_u32 s23, s40, s42
	s_cselect_b32 s25, -1, 0
	s_delay_alu instid0(SALU_CYCLE_1) | instskip(SKIP_2) | instid1(SALU_CYCLE_1)
	s_cmp_lg_u32 s25, 0
	s_add_co_ci_u32 s25, s41, s43
	s_ashr_i32 s40, s29, 31
	s_mov_b32 s41, s40
	s_delay_alu instid0(SALU_CYCLE_1) | instskip(NEXT) | instid1(SALU_CYCLE_1)
	s_add_nc_u64 s[42:43], s[28:29], s[40:41]
	s_xor_b64 s[42:43], s[42:43], s[40:41]
	s_delay_alu instid0(SALU_CYCLE_1)
	s_mul_hi_u32 s45, s42, s25
	s_mul_i32 s44, s42, s25
	s_mul_hi_u32 s36, s42, s23
	s_mul_hi_u32 s33, s43, s23
	s_mul_i32 s23, s43, s23
	s_add_nc_u64 s[44:45], s[36:37], s[44:45]
	s_mul_hi_u32 s31, s43, s25
	s_add_co_u32 s23, s44, s23
	s_add_co_ci_u32 s36, s45, s33
	s_mul_i32 s46, s43, s25
	s_add_co_ci_u32 s47, s31, 0
	s_delay_alu instid0(SALU_CYCLE_1) | instskip(NEXT) | instid1(SALU_CYCLE_1)
	s_add_nc_u64 s[44:45], s[36:37], s[46:47]
	s_and_b64 s[46:47], s[44:45], 0xffffffff00000000
	s_delay_alu instid0(SALU_CYCLE_1) | instskip(NEXT) | instid1(SALU_CYCLE_1)
	s_or_b32 s46, s46, s44
	s_mul_u64 s[44:45], s[38:39], s[46:47]
	s_add_nc_u64 s[48:49], s[46:47], 1
	s_sub_co_u32 s23, s42, s44
	s_cselect_b32 s25, -1, 0
	s_sub_co_i32 s31, s43, s45
	s_cmp_lg_u32 s25, 0
	s_add_nc_u64 s[50:51], s[46:47], 2
	s_sub_co_ci_u32 s31, s31, s39
	s_sub_co_u32 s33, s23, s38
	s_cselect_b32 s36, -1, 0
	s_delay_alu instid0(SALU_CYCLE_1) | instskip(SKIP_1) | instid1(SALU_CYCLE_1)
	s_cmp_lg_u32 s36, 0
	s_sub_co_ci_u32 s31, s31, 0
	s_cmp_ge_u32 s31, s39
	s_cselect_b32 s36, -1, 0
	s_cmp_ge_u32 s33, s38
	s_cselect_b32 s33, -1, 0
	s_cmp_eq_u32 s31, s39
	s_cselect_b32 s31, s33, s36
	s_delay_alu instid0(SALU_CYCLE_1) | instskip(SKIP_4) | instid1(SALU_CYCLE_1)
	s_cmp_lg_u32 s31, 0
	s_cselect_b32 s31, s50, s48
	s_cselect_b32 s33, s51, s49
	s_cmp_lg_u32 s25, 0
	s_sub_co_ci_u32 s25, s43, s45
	s_cmp_ge_u32 s25, s39
	s_cselect_b32 s36, -1, 0
	s_cmp_ge_u32 s23, s38
	s_cselect_b32 s23, -1, 0
	s_cmp_eq_u32 s25, s39
	s_cselect_b32 s23, s23, s36
	s_delay_alu instid0(SALU_CYCLE_1) | instskip(SKIP_3) | instid1(SALU_CYCLE_1)
	s_cmp_lg_u32 s23, 0
	s_cselect_b32 s39, s33, s47
	s_cselect_b32 s38, s31, s46
	s_xor_b64 s[34:35], s[40:41], s[34:35]
	s_xor_b64 s[38:39], s[38:39], s[34:35]
	s_delay_alu instid0(SALU_CYCLE_1)
	s_sub_nc_u64 s[34:35], s[38:39], s[34:35]
	s_load_b32 s41, s[0:1], 0x64
	s_cbranch_execnz .LBB0_13
.LBB0_12:
	v_cvt_f32_u32_e32 v1, s4
	s_sub_co_i32 s25, 0, s4
	s_mov_b32 s35, 0
	s_delay_alu instid0(VALU_DEP_1) | instskip(SKIP_1) | instid1(TRANS32_DEP_1)
	v_rcp_iflag_f32_e32 v1, v1
	v_nop
	v_mul_f32_e32 v1, 0x4f7ffffe, v1
	s_delay_alu instid0(VALU_DEP_1) | instskip(NEXT) | instid1(VALU_DEP_1)
	v_cvt_u32_f32_e32 v1, v1
	v_readfirstlane_b32 s23, v1
	s_mul_i32 s25, s25, s23
	s_delay_alu instid0(SALU_CYCLE_1) | instskip(NEXT) | instid1(SALU_CYCLE_1)
	s_mul_hi_u32 s25, s23, s25
	s_add_co_i32 s23, s23, s25
	s_delay_alu instid0(SALU_CYCLE_1) | instskip(NEXT) | instid1(SALU_CYCLE_1)
	s_mul_hi_u32 s23, s22, s23
	s_mul_i32 s25, s23, s4
	s_delay_alu instid0(SALU_CYCLE_1)
	s_sub_co_i32 s22, s22, s25
	s_add_co_i32 s25, s23, 1
	s_sub_co_i32 s31, s22, s4
	s_cmp_ge_u32 s22, s4
	s_cselect_b32 s23, s25, s23
	s_cselect_b32 s22, s31, s22
	s_add_co_i32 s25, s23, 1
	s_cmp_ge_u32 s22, s4
	s_cselect_b32 s34, s25, s23
.LBB0_13:
	s_mul_i32 s15, s15, s24
	s_ashr_i32 s23, s20, 31
	s_mov_b32 s22, s20
	s_ashr_i32 s25, s21, 31
	s_mov_b32 s24, s21
	s_add_co_i32 s33, s26, s15
	s_mul_u64 s[36:37], s[24:25], s[22:23]
	s_sub_co_i32 s15, s30, s33
	s_mul_u64 s[2:3], s[36:37], s[2:3]
	s_add_co_i32 s36, s15, 1
	s_lshl_b64 s[2:3], s[2:3], 3
	s_and_b32 s37, s27, 0xffff
	s_ashr_i32 s27, s13, 31
	s_ashr_i32 s15, s14, 31
	s_cmp_gt_i32 s36, 0
	v_cvt_f32_u32_e32 v1, s22
	s_cselect_b32 s38, -1, 0
	s_ashr_i32 s39, s20, 31
	s_load_b128 s[44:47], s[0:1], 0x0
	s_add_co_i32 s26, s20, s39
	v_rcp_iflag_f32_e32 v1, v1
	s_xor_b32 s40, s26, s39
	s_sub_co_i32 s26, 0, s20
	v_cvt_f32_u32_e32 v3, s40
	s_sub_co_i32 s30, 0, s40
	v_and_b32_e32 v14, 0x3ff, v0
	s_wait_xcnt 0x0
	s_mul_u64 s[0:1], s[34:35], s[4:5]
	v_mul_f32_e32 v1, 0x4f7ffffe, v1
	v_rcp_iflag_f32_e32 v3, v3
	s_sub_nc_u64 s[0:1], s[28:29], s[0:1]
	s_bfe_i64 s[28:29], s[34:35], 0x200000
	s_mul_u64 s[8:9], s[0:1], s[8:9]
	v_cvt_u32_f32_e32 v4, v1
	s_mul_u64 s[6:7], s[28:29], s[6:7]
	v_cmp_gt_i32_e64 s0, s21, v14
	v_mul_f32_e32 v3, 0x4f7ffffe, v3
	s_lshl_b64 s[28:29], s[6:7], 3
	v_mul_lo_u32 v5, s26, v4
	s_lshl_b64 s[8:9], s[8:9], 3
	s_wait_kmcnt 0x0
	s_add_nc_u64 s[6:7], s[46:47], s[2:3]
	v_cvt_u32_f32_e32 v3, v3
	s_add_nc_u64 s[2:3], s[44:45], s[28:29]
	s_mul_i32 s41, s41, s12
	s_mov_b32 s26, s13
	s_mov_b32 s4, 0
	v_mul_lo_u32 v6, s30, v3
	s_mov_b64 s[12:13], 0xffffffff
	s_add_nc_u64 s[8:9], s[2:3], s[8:9]
	v_mul_hi_u32 v0, v4, v5
	s_ashr_i32 s28, s23, 31
	s_mov_b32 s42, 0
	s_delay_alu instid0(VALU_DEP_2) | instskip(NEXT) | instid1(VALU_DEP_2)
	v_mul_hi_u32 v5, v3, v6
	v_dual_mov_b32 v1, 0 :: v_dual_add_nc_u32 v16, v4, v0
	s_delay_alu instid0(VALU_DEP_2)
	v_add_nc_u32_e32 v15, v3, v5
	s_branch .LBB0_15
.LBB0_14:                               ;   in Loop: Header=BB0_15 Depth=1
	s_or_b32 exec_lo, exec_lo, s3
	v_add_nc_u32_e32 v2, s41, v2
	s_delay_alu instid0(VALU_DEP_1) | instskip(SKIP_1) | instid1(SALU_CYCLE_1)
	v_cmp_le_i32_e32 vcc_lo, s20, v2
	s_or_b32 s42, vcc_lo, s42
	s_and_not1_b32 exec_lo, exec_lo, s42
	s_cbranch_execz .LBB0_53
.LBB0_15:                               ; =>This Loop Header: Depth=1
                                        ;     Child Loop BB0_30 Depth 2
                                        ;       Child Loop BB0_46 Depth 3
                                        ;         Child Loop BB0_49 Depth 4
                                        ;           Child Loop BB0_51 Depth 5
	s_delay_alu instid0(VALU_DEP_2) | instskip(NEXT) | instid1(VALU_DEP_1)
	v_dual_mov_b32 v4, v1 :: v_dual_ashrrev_i32 v3, 31, v2
	v_or_b32_e32 v5, s23, v3
	s_delay_alu instid0(VALU_DEP_1) | instskip(SKIP_1) | instid1(SALU_CYCLE_1)
	v_cmp_ne_u64_e32 vcc_lo, 0, v[4:5]
                                        ; implicit-def: $vgpr4_vgpr5
	s_and_saveexec_b32 s1, vcc_lo
	s_xor_b32 s1, exec_lo, s1
	s_cbranch_execz .LBB0_17
; %bb.16:                               ;   in Loop: Header=BB0_15 Depth=1
	v_ashrrev_i32_e32 v0, 31, v2
	s_delay_alu instid0(VALU_DEP_1) | instskip(NEXT) | instid1(VALU_DEP_1)
	v_add_nc_u32_e32 v4, v2, v0
	v_xor_b32_e32 v4, v4, v0
	s_delay_alu instid0(VALU_DEP_1) | instskip(NEXT) | instid1(VALU_DEP_1)
	v_mul_hi_u32 v5, v4, v15
	v_mul_lo_u32 v6, v5, s40
	s_delay_alu instid0(VALU_DEP_1) | instskip(SKIP_1) | instid1(VALU_DEP_2)
	v_dual_sub_nc_u32 v4, v4, v6 :: v_dual_add_nc_u32 v6, 1, v5
	v_xor_b32_e32 v0, s39, v0
	v_subrev_nc_u32_e32 v7, s40, v4
	v_cmp_le_u32_e32 vcc_lo, s40, v4
	s_delay_alu instid0(VALU_DEP_2) | instskip(NEXT) | instid1(VALU_DEP_1)
	v_dual_cndmask_b32 v4, v4, v7 :: v_dual_cndmask_b32 v5, v5, v6
	v_cmp_le_u32_e32 vcc_lo, s40, v4
	s_delay_alu instid0(VALU_DEP_2) | instskip(NEXT) | instid1(VALU_DEP_1)
	v_add_nc_u32_e32 v6, 1, v5
	v_cndmask_b32_e32 v4, v5, v6, vcc_lo
	s_delay_alu instid0(VALU_DEP_1) | instskip(NEXT) | instid1(VALU_DEP_1)
	v_xor_b32_e32 v4, v4, v0
	v_sub_nc_u32_e32 v4, v4, v0
	s_delay_alu instid0(VALU_DEP_1)
	v_ashrrev_i32_e32 v5, 31, v4
.LBB0_17:                               ;   in Loop: Header=BB0_15 Depth=1
	s_and_not1_saveexec_b32 s1, s1
	s_cbranch_execz .LBB0_19
; %bb.18:                               ;   in Loop: Header=BB0_15 Depth=1
	v_mul_hi_u32 v0, v2, v16
	s_delay_alu instid0(VALU_DEP_1) | instskip(SKIP_1) | instid1(VALU_DEP_2)
	v_mul_lo_u32 v4, v0, s22
	v_add_nc_u32_e32 v5, 1, v0
	v_sub_nc_u32_e32 v4, v2, v4
	s_delay_alu instid0(VALU_DEP_1) | instskip(NEXT) | instid1(VALU_DEP_3)
	v_cmp_le_u32_e32 vcc_lo, s22, v4
	v_cndmask_b32_e32 v0, v0, v5, vcc_lo
	v_subrev_nc_u32_e32 v6, s22, v4
	s_delay_alu instid0(VALU_DEP_1) | instskip(NEXT) | instid1(VALU_DEP_1)
	v_dual_cndmask_b32 v4, v4, v6 :: v_dual_add_nc_u32 v5, 1, v0
	v_cmp_le_u32_e32 vcc_lo, s22, v4
	s_delay_alu instid0(VALU_DEP_2) | instskip(NEXT) | instid1(VALU_DEP_1)
	v_cndmask_b32_e32 v0, v0, v5, vcc_lo
	v_mov_b64_e32 v[4:5], v[0:1]
.LBB0_19:                               ;   in Loop: Header=BB0_15 Depth=1
	s_or_b32 exec_lo, exec_lo, s1
	s_delay_alu instid0(VALU_DEP_1) | instskip(NEXT) | instid1(VALU_DEP_1)
	v_mul_u64_e32 v[6:7], s[22:23], v[4:5]
	v_sub_nc_u64_e32 v[6:7], v[2:3], v[6:7]
	s_delay_alu instid0(VALU_DEP_1) | instskip(NEXT) | instid1(VALU_DEP_1)
	v_mul_u64_e32 v[8:9], s[26:27], v[6:7]
	v_dual_mov_b32 v6, v1 :: v_dual_bitop2_b32 v7, s23, v9 bitop3:0x54
	s_delay_alu instid0(VALU_DEP_1) | instskip(SKIP_1) | instid1(SALU_CYCLE_1)
	v_cmp_ne_u64_e32 vcc_lo, 0, v[6:7]
                                        ; implicit-def: $vgpr6_vgpr7
	s_and_saveexec_b32 s1, vcc_lo
	s_xor_b32 s5, exec_lo, s1
	s_cbranch_execz .LBB0_21
; %bb.20:                               ;   in Loop: Header=BB0_15 Depth=1
	s_mov_b32 s29, s28
	s_mov_b32 s45, s4
	s_add_nc_u64 s[2:3], s[22:23], s[28:29]
	s_mov_b32 s49, s4
	s_xor_b64 s[2:3], s[2:3], s[28:29]
	v_dual_mov_b32 v13, v1 :: v_dual_ashrrev_i32 v6, 31, v9
	s_cvt_f32_u32 s1, s2
	s_cvt_f32_u32 s29, s3
	s_sub_nc_u64 s[34:35], 0, s[2:3]
	s_delay_alu instid0(VALU_DEP_1) | instskip(NEXT) | instid1(SALU_CYCLE_1)
	v_mov_b32_e32 v7, v6
	s_fmamk_f32 s1, s29, 0x4f800000, s1
	s_delay_alu instid0(VALU_DEP_1) | instskip(NEXT) | instid1(SALU_CYCLE_2)
	v_add_nc_u64_e32 v[8:9], v[8:9], v[6:7]
	v_s_rcp_f32 s1, s1
	s_delay_alu instid0(VALU_DEP_1) | instskip(NEXT) | instid1(VALU_DEP_2)
	v_xor_b32_e32 v0, v8, v6
	v_xor_b32_e32 v12, v9, v6
	s_delay_alu instid0(TRANS32_DEP_1) | instskip(SKIP_1) | instid1(SALU_CYCLE_2)
	s_mul_f32 s1, s1, 0x5f7ffffc
	v_mov_b32_e32 v21, v1
	s_mul_f32 s29, s1, 0x2f800000
	s_delay_alu instid0(SALU_CYCLE_3) | instskip(NEXT) | instid1(SALU_CYCLE_3)
	s_trunc_f32 s29, s29
	s_fmamk_f32 s1, s29, 0xcf800000, s1
	s_cvt_u32_f32 s31, s29
	s_delay_alu instid0(SALU_CYCLE_2) | instskip(NEXT) | instid1(SALU_CYCLE_3)
	s_cvt_u32_f32 s30, s1
	s_mul_u64 s[46:47], s[34:35], s[30:31]
	s_delay_alu instid0(SALU_CYCLE_1)
	s_mul_hi_u32 s51, s30, s47
	s_mul_i32 s50, s30, s47
	s_mul_hi_u32 s44, s30, s46
	s_mul_i32 s29, s31, s46
	s_add_nc_u64 s[44:45], s[44:45], s[50:51]
	s_mul_hi_u32 s1, s31, s46
	s_mul_hi_u32 s43, s31, s47
	s_add_co_u32 s29, s44, s29
	s_add_co_ci_u32 s48, s45, s1
	s_mul_i32 s46, s31, s47
	s_add_co_ci_u32 s47, s43, 0
	s_delay_alu instid0(SALU_CYCLE_1) | instskip(SKIP_3) | instid1(SALU_CYCLE_1)
	s_add_nc_u64 s[44:45], s[48:49], s[46:47]
	s_mov_b32 s47, s4
	s_add_co_u32 s30, s30, s44
	s_cselect_b32 s1, -1, 0
	s_cmp_lg_u32 s1, 0
	s_add_co_ci_u32 s31, s31, s45
	s_mov_b32 s45, s4
	s_mul_u64 s[34:35], s[34:35], s[30:31]
	s_delay_alu instid0(SALU_CYCLE_1)
	s_mul_hi_u32 s49, s30, s35
	s_mul_i32 s48, s30, s35
	s_mul_hi_u32 s46, s30, s34
	s_mul_i32 s29, s31, s34
	s_add_nc_u64 s[46:47], s[46:47], s[48:49]
	s_mul_hi_u32 s1, s31, s34
	s_mul_hi_u32 s43, s31, s35
	s_add_co_u32 s29, s46, s29
	s_add_co_ci_u32 s44, s47, s1
	s_mul_i32 s34, s31, s35
	s_add_co_ci_u32 s35, s43, 0
	s_delay_alu instid0(SALU_CYCLE_1) | instskip(NEXT) | instid1(SALU_CYCLE_1)
	s_add_nc_u64 s[34:35], s[44:45], s[34:35]
	s_add_co_u32 s30, s30, s34
	s_cselect_b32 s1, -1, 0
	v_mul_hi_u32 v20, v0, s30
	s_cmp_lg_u32 s1, 0
	s_add_co_ci_u32 s44, s31, s35
	s_and_b64 s[34:35], s[30:31], s[12:13]
	v_mul_u64_e32 v[10:11], s[44:45], v[0:1]
	v_mul_u64_e32 v[8:9], s[34:35], v[12:13]
	;; [unrolled: 1-line block ×3, first 2 shown]
	s_delay_alu instid0(VALU_DEP_3) | instskip(NEXT) | instid1(VALU_DEP_1)
	v_add_nc_u64_e32 v[10:11], v[20:21], v[10:11]
	v_add_co_u32 v5, vcc_lo, v10, v8
	s_delay_alu instid0(VALU_DEP_2) | instskip(NEXT) | instid1(VALU_DEP_4)
	v_add_co_ci_u32_e32 v20, vcc_lo, v11, v9, vcc_lo
	v_add_co_ci_u32_e32 v19, vcc_lo, 0, v19, vcc_lo
	s_delay_alu instid0(VALU_DEP_1) | instskip(NEXT) | instid1(VALU_DEP_1)
	v_add_nc_u64_e32 v[8:9], v[20:21], v[18:19]
	v_mul_u64_e32 v[10:11], s[2:3], v[8:9]
	s_delay_alu instid0(VALU_DEP_1) | instskip(NEXT) | instid1(VALU_DEP_2)
	v_sub_nc_u32_e32 v5, v12, v11
	v_sub_co_u32 v0, vcc_lo, v0, v10
	s_delay_alu instid0(VALU_DEP_1) | instskip(NEXT) | instid1(VALU_DEP_3)
	v_sub_co_ci_u32_e64 v17, null, v12, v11, vcc_lo
	v_subrev_co_ci_u32_e64 v5, null, s3, v5, vcc_lo
	s_delay_alu instid0(VALU_DEP_3) | instskip(SKIP_1) | instid1(VALU_DEP_3)
	v_sub_co_u32 v7, s1, v0, s2
	v_add_nc_u64_e32 v[12:13], 1, v[8:9]
	v_subrev_co_ci_u32_e64 v5, null, 0, v5, s1
	s_delay_alu instid0(VALU_DEP_3) | instskip(SKIP_1) | instid1(VALU_DEP_3)
	v_cmp_le_u32_e32 vcc_lo, s2, v7
	v_cndmask_b32_e64 v7, 0, -1, vcc_lo
	v_cmp_le_u32_e32 vcc_lo, s3, v5
	v_cndmask_b32_e64 v10, 0, -1, vcc_lo
	v_cmp_le_u32_e32 vcc_lo, s2, v0
	v_cndmask_b32_e64 v0, 0, -1, vcc_lo
	v_cmp_le_u32_e32 vcc_lo, s3, v17
	v_cndmask_b32_e64 v18, 0, -1, vcc_lo
	v_cmp_eq_u32_e32 vcc_lo, s3, v5
	v_cndmask_b32_e32 v5, v10, v7, vcc_lo
	v_cmp_eq_u32_e32 vcc_lo, s3, v17
	v_add_nc_u64_e32 v[10:11], 2, v[8:9]
	v_cndmask_b32_e32 v0, v18, v0, vcc_lo
	s_delay_alu instid0(VALU_DEP_4) | instskip(NEXT) | instid1(VALU_DEP_3)
	v_cmp_ne_u32_e32 vcc_lo, 0, v5
	v_cndmask_b32_e32 v5, v13, v11, vcc_lo
	s_delay_alu instid0(VALU_DEP_3) | instskip(NEXT) | instid1(VALU_DEP_1)
	v_cmp_ne_u32_e64 s1, 0, v0
	v_dual_cndmask_b32 v0, v12, v10, vcc_lo :: v_dual_cndmask_b32 v5, v9, v5, s1
	s_delay_alu instid0(VALU_DEP_1) | instskip(NEXT) | instid1(VALU_DEP_1)
	v_dual_cndmask_b32 v0, v8, v0, s1 :: v_dual_bitop2_b32 v6, s28, v6 bitop3:0x14
	v_dual_mov_b32 v7, v6 :: v_dual_bitop2_b32 v9, v5, v6 bitop3:0x14
	s_delay_alu instid0(VALU_DEP_2) | instskip(NEXT) | instid1(VALU_DEP_1)
	v_xor_b32_e32 v8, v0, v6
	v_sub_nc_u64_e32 v[6:7], v[8:9], v[6:7]
                                        ; implicit-def: $vgpr8_vgpr9
.LBB0_21:                               ;   in Loop: Header=BB0_15 Depth=1
	s_and_not1_saveexec_b32 s1, s5
	s_cbranch_execz .LBB0_23
; %bb.22:                               ;   in Loop: Header=BB0_15 Depth=1
	s_delay_alu instid0(VALU_DEP_3) | instskip(NEXT) | instid1(VALU_DEP_1)
	v_mul_hi_u32 v0, v8, v16
	v_mul_lo_u32 v5, v0, s22
	s_delay_alu instid0(VALU_DEP_1) | instskip(NEXT) | instid1(VALU_DEP_1)
	v_dual_add_nc_u32 v6, 1, v0 :: v_dual_sub_nc_u32 v5, v8, v5
	v_subrev_nc_u32_e32 v7, s22, v5
	v_cmp_le_u32_e32 vcc_lo, s22, v5
	s_delay_alu instid0(VALU_DEP_2) | instskip(NEXT) | instid1(VALU_DEP_1)
	v_dual_cndmask_b32 v5, v5, v7 :: v_dual_cndmask_b32 v0, v0, v6
	v_cmp_le_u32_e32 vcc_lo, s22, v5
	s_delay_alu instid0(VALU_DEP_2) | instskip(NEXT) | instid1(VALU_DEP_1)
	v_add_nc_u32_e32 v6, 1, v0
	v_cndmask_b32_e32 v6, v0, v6, vcc_lo
.LBB0_23:                               ;   in Loop: Header=BB0_15 Depth=1
	s_or_b32 exec_lo, exec_lo, s1
	v_add_nc_u64_e32 v[10:11], 1, v[2:3]
	s_delay_alu instid0(VALU_DEP_1) | instskip(NEXT) | instid1(VALU_DEP_1)
	v_mad_nc_u64_u32 v[8:9], v10, s26, -1
	v_mad_u32 v0, v11, s26, v9
	s_delay_alu instid0(VALU_DEP_1) | instskip(NEXT) | instid1(VALU_DEP_1)
	v_mad_u32 v9, v10, s27, v0
	v_dual_mov_b32 v10, v1 :: v_dual_bitop2_b32 v11, s23, v9 bitop3:0x54
	s_delay_alu instid0(VALU_DEP_1) | instskip(SKIP_1) | instid1(SALU_CYCLE_1)
	v_cmp_ne_u64_e32 vcc_lo, 0, v[10:11]
                                        ; implicit-def: $vgpr10_vgpr11
	s_and_saveexec_b32 s1, vcc_lo
	s_xor_b32 s5, exec_lo, s1
	s_cbranch_execnz .LBB0_26
; %bb.24:                               ;   in Loop: Header=BB0_15 Depth=1
	s_and_not1_saveexec_b32 s1, s5
	s_cbranch_execnz .LBB0_27
.LBB0_25:                               ;   in Loop: Header=BB0_15 Depth=1
	s_or_b32 exec_lo, exec_lo, s1
	s_and_saveexec_b32 s3, s0
	s_cbranch_execz .LBB0_14
	s_branch .LBB0_28
.LBB0_26:                               ;   in Loop: Header=BB0_15 Depth=1
	s_mov_b32 s29, s28
	s_mov_b32 s45, s4
	s_add_nc_u64 s[2:3], s[22:23], s[28:29]
	s_mov_b32 s49, s4
	s_xor_b64 s[2:3], s[2:3], s[28:29]
	v_dual_mov_b32 v19, v1 :: v_dual_ashrrev_i32 v10, 31, v9
	s_cvt_f32_u32 s1, s2
	s_cvt_f32_u32 s29, s3
	s_sub_nc_u64 s[34:35], 0, s[2:3]
	s_delay_alu instid0(VALU_DEP_1) | instskip(NEXT) | instid1(SALU_CYCLE_1)
	v_mov_b32_e32 v11, v10
	s_fmamk_f32 s1, s29, 0x4f800000, s1
	s_delay_alu instid0(VALU_DEP_1) | instskip(NEXT) | instid1(SALU_CYCLE_2)
	v_add_nc_u64_e32 v[8:9], v[8:9], v[10:11]
	v_s_rcp_f32 s1, s1
	s_delay_alu instid0(VALU_DEP_1) | instskip(NEXT) | instid1(VALU_DEP_2)
	v_xor_b32_e32 v0, v8, v10
	v_xor_b32_e32 v18, v9, v10
	s_delay_alu instid0(TRANS32_DEP_1) | instskip(SKIP_1) | instid1(SALU_CYCLE_2)
	s_mul_f32 s1, s1, 0x5f7ffffc
	v_dual_mov_b32 v23, v1 :: v_dual_bitop2_b32 v10, s28, v10 bitop3:0x14
	s_mul_f32 s29, s1, 0x2f800000
	s_delay_alu instid0(SALU_CYCLE_3) | instskip(NEXT) | instid1(SALU_CYCLE_3)
	s_trunc_f32 s29, s29
	s_fmamk_f32 s1, s29, 0xcf800000, s1
	s_cvt_u32_f32 s31, s29
	s_delay_alu instid0(SALU_CYCLE_2) | instskip(NEXT) | instid1(SALU_CYCLE_3)
	s_cvt_u32_f32 s30, s1
	s_mul_u64 s[46:47], s[34:35], s[30:31]
	s_delay_alu instid0(SALU_CYCLE_1)
	s_mul_hi_u32 s51, s30, s47
	s_mul_i32 s50, s30, s47
	s_mul_hi_u32 s44, s30, s46
	s_mul_i32 s29, s31, s46
	s_add_nc_u64 s[44:45], s[44:45], s[50:51]
	s_mul_hi_u32 s1, s31, s46
	s_mul_hi_u32 s43, s31, s47
	s_add_co_u32 s29, s44, s29
	s_add_co_ci_u32 s48, s45, s1
	s_mul_i32 s46, s31, s47
	s_add_co_ci_u32 s47, s43, 0
	s_delay_alu instid0(SALU_CYCLE_1) | instskip(SKIP_3) | instid1(SALU_CYCLE_1)
	s_add_nc_u64 s[44:45], s[48:49], s[46:47]
	s_mov_b32 s47, s4
	s_add_co_u32 s30, s30, s44
	s_cselect_b32 s1, -1, 0
	s_cmp_lg_u32 s1, 0
	s_add_co_ci_u32 s31, s31, s45
	s_mov_b32 s45, s4
	s_mul_u64 s[34:35], s[34:35], s[30:31]
	s_delay_alu instid0(SALU_CYCLE_1)
	s_mul_hi_u32 s49, s30, s35
	s_mul_i32 s48, s30, s35
	s_mul_hi_u32 s46, s30, s34
	s_mul_i32 s29, s31, s34
	s_add_nc_u64 s[46:47], s[46:47], s[48:49]
	s_mul_hi_u32 s1, s31, s34
	s_mul_hi_u32 s43, s31, s35
	s_add_co_u32 s29, s46, s29
	s_add_co_ci_u32 s44, s47, s1
	s_mul_i32 s34, s31, s35
	s_add_co_ci_u32 s35, s43, 0
	s_delay_alu instid0(SALU_CYCLE_1) | instskip(NEXT) | instid1(SALU_CYCLE_1)
	s_add_nc_u64 s[34:35], s[44:45], s[34:35]
	s_add_co_u32 s30, s30, s34
	s_cselect_b32 s1, -1, 0
	v_mul_hi_u32 v22, v0, s30
	s_cmp_lg_u32 s1, 0
	s_add_co_ci_u32 s44, s31, s35
	s_and_b64 s[34:35], s[30:31], s[12:13]
	v_mul_u64_e32 v[12:13], s[44:45], v[0:1]
	v_mul_u64_e32 v[8:9], s[34:35], v[18:19]
	v_mul_u64_e32 v[20:21], s[44:45], v[18:19]
	s_delay_alu instid0(VALU_DEP_3) | instskip(NEXT) | instid1(VALU_DEP_1)
	v_add_nc_u64_e32 v[12:13], v[22:23], v[12:13]
	v_add_co_u32 v3, vcc_lo, v12, v8
	s_delay_alu instid0(VALU_DEP_2) | instskip(NEXT) | instid1(VALU_DEP_4)
	v_add_co_ci_u32_e32 v22, vcc_lo, v13, v9, vcc_lo
	v_add_co_ci_u32_e32 v21, vcc_lo, 0, v21, vcc_lo
	s_delay_alu instid0(VALU_DEP_1) | instskip(NEXT) | instid1(VALU_DEP_1)
	v_add_nc_u64_e32 v[8:9], v[22:23], v[20:21]
	v_mul_u64_e32 v[12:13], s[2:3], v[8:9]
	s_delay_alu instid0(VALU_DEP_1) | instskip(NEXT) | instid1(VALU_DEP_2)
	v_sub_nc_u32_e32 v3, v18, v13
	v_sub_co_u32 v0, vcc_lo, v0, v12
	s_delay_alu instid0(VALU_DEP_1) | instskip(NEXT) | instid1(VALU_DEP_3)
	v_sub_co_ci_u32_e64 v7, null, v18, v13, vcc_lo
	v_subrev_co_ci_u32_e64 v3, null, s3, v3, vcc_lo
	s_delay_alu instid0(VALU_DEP_3) | instskip(SKIP_1) | instid1(VALU_DEP_3)
	v_sub_co_u32 v5, s1, v0, s2
	v_add_nc_u64_e32 v[12:13], 2, v[8:9]
	v_subrev_co_ci_u32_e64 v3, null, 0, v3, s1
	s_delay_alu instid0(VALU_DEP_3) | instskip(SKIP_2) | instid1(VALU_DEP_4)
	v_cmp_le_u32_e32 vcc_lo, s2, v5
	v_add_nc_u64_e32 v[18:19], 1, v[8:9]
	v_cndmask_b32_e64 v5, 0, -1, vcc_lo
	v_cmp_le_u32_e32 vcc_lo, s3, v3
	v_cndmask_b32_e64 v11, 0, -1, vcc_lo
	v_cmp_le_u32_e32 vcc_lo, s2, v0
	;; [unrolled: 2-line block ×3, first 2 shown]
	v_cndmask_b32_e64 v17, 0, -1, vcc_lo
	v_cmp_eq_u32_e32 vcc_lo, s3, v3
	v_cndmask_b32_e32 v3, v11, v5, vcc_lo
	v_cmp_eq_u32_e32 vcc_lo, s3, v7
	s_delay_alu instid0(VALU_DEP_4) | instskip(NEXT) | instid1(VALU_DEP_3)
	v_cndmask_b32_e32 v0, v17, v0, vcc_lo
	v_cmp_ne_u32_e32 vcc_lo, 0, v3
	v_cndmask_b32_e32 v3, v19, v13, vcc_lo
	s_delay_alu instid0(VALU_DEP_3) | instskip(NEXT) | instid1(VALU_DEP_1)
	v_cmp_ne_u32_e64 s1, 0, v0
	v_dual_cndmask_b32 v0, v18, v12, vcc_lo :: v_dual_cndmask_b32 v3, v9, v3, s1
	s_delay_alu instid0(VALU_DEP_1) | instskip(NEXT) | instid1(VALU_DEP_2)
	v_dual_cndmask_b32 v0, v8, v0, s1 :: v_dual_mov_b32 v11, v10
	v_xor_b32_e32 v9, v3, v10
	s_delay_alu instid0(VALU_DEP_2) | instskip(NEXT) | instid1(VALU_DEP_1)
	v_xor_b32_e32 v8, v0, v10
	v_sub_nc_u64_e32 v[10:11], v[8:9], v[10:11]
                                        ; implicit-def: $vgpr8_vgpr9
	s_and_not1_saveexec_b32 s1, s5
	s_cbranch_execz .LBB0_25
.LBB0_27:                               ;   in Loop: Header=BB0_15 Depth=1
	v_mul_hi_u32 v0, v8, v16
	s_delay_alu instid0(VALU_DEP_1) | instskip(NEXT) | instid1(VALU_DEP_1)
	v_mul_lo_u32 v3, v0, s22
	v_dual_add_nc_u32 v5, 1, v0 :: v_dual_sub_nc_u32 v3, v8, v3
	s_delay_alu instid0(VALU_DEP_1) | instskip(SKIP_1) | instid1(VALU_DEP_2)
	v_subrev_nc_u32_e32 v7, s22, v3
	v_cmp_le_u32_e32 vcc_lo, s22, v3
	v_dual_cndmask_b32 v3, v3, v7 :: v_dual_cndmask_b32 v0, v0, v5
	s_delay_alu instid0(VALU_DEP_1) | instskip(NEXT) | instid1(VALU_DEP_2)
	v_cmp_le_u32_e32 vcc_lo, s22, v3
	v_add_nc_u32_e32 v5, 1, v0
	s_delay_alu instid0(VALU_DEP_1)
	v_cndmask_b32_e32 v10, v0, v5, vcc_lo
	s_or_b32 exec_lo, exec_lo, s1
	s_and_saveexec_b32 s3, s0
	s_cbranch_execz .LBB0_14
.LBB0_28:                               ;   in Loop: Header=BB0_15 Depth=1
	v_mad_u32 v3, v4, s26, v6
	v_mul_lo_u32 v4, v2, s21
	s_mov_b32 s29, 0
	s_delay_alu instid0(VALU_DEP_1) | instskip(NEXT) | instid1(VALU_DEP_1)
	v_dual_sub_nc_u32 v0, v10, v3 :: v_dual_ashrrev_i32 v5, 31, v4
	v_dual_mov_b32 v0, v14 :: v_dual_add_nc_u32 v17, 1, v0
	s_delay_alu instid0(VALU_DEP_2) | instskip(NEXT) | instid1(VALU_DEP_2)
	v_lshl_add_u64 v[4:5], v[4:5], 3, s[6:7]
	v_mul_lo_u32 v18, v17, s36
	v_cmp_lt_i32_e64 s1, 0, v17
	s_branch .LBB0_30
.LBB0_29:                               ;   in Loop: Header=BB0_30 Depth=2
	s_delay_alu instid0(VALU_DEP_2) | instskip(NEXT) | instid1(VALU_DEP_1)
	v_mul_lo_u32 v8, v18, v10
	v_cvt_f64_i32_e32 v[8:9], v8
	s_delay_alu instid0(VALU_DEP_1) | instskip(NEXT) | instid1(VALU_DEP_1)
	v_div_scale_f64 v[10:11], null, v[8:9], v[8:9], v[6:7]
	v_rcp_f64_e32 v[12:13], v[10:11]
	v_nop
	s_delay_alu instid0(TRANS32_DEP_1) | instskip(NEXT) | instid1(VALU_DEP_1)
	v_fma_f64 v[20:21], -v[10:11], v[12:13], 1.0
	v_fmac_f64_e32 v[12:13], v[12:13], v[20:21]
	s_delay_alu instid0(VALU_DEP_1) | instskip(NEXT) | instid1(VALU_DEP_1)
	v_fma_f64 v[20:21], -v[10:11], v[12:13], 1.0
	v_fmac_f64_e32 v[12:13], v[12:13], v[20:21]
	v_div_scale_f64 v[20:21], vcc_lo, v[6:7], v[8:9], v[6:7]
	s_delay_alu instid0(VALU_DEP_1) | instskip(NEXT) | instid1(VALU_DEP_1)
	v_mul_f64_e32 v[22:23], v[20:21], v[12:13]
	v_fma_f64 v[10:11], -v[10:11], v[22:23], v[20:21]
	s_delay_alu instid0(VALU_DEP_1) | instskip(NEXT) | instid1(VALU_DEP_1)
	v_div_fmas_f64 v[10:11], v[10:11], v[12:13], v[22:23]
	v_div_fixup_f64 v[6:7], v[10:11], v[8:9], v[6:7]
	v_lshl_add_u64 v[8:9], v[0:1], 3, v[4:5]
	v_add_nc_u32_e32 v0, s37, v0
	s_delay_alu instid0(VALU_DEP_1)
	v_cmp_le_i32_e32 vcc_lo, s21, v0
	s_or_b32 s29, vcc_lo, s29
	global_store_b64 v[8:9], v[6:7], off
	s_wait_xcnt 0x0
	s_and_not1_b32 exec_lo, exec_lo, s29
	s_cbranch_execz .LBB0_14
.LBB0_30:                               ;   Parent Loop BB0_15 Depth=1
                                        ; =>  This Loop Header: Depth=2
                                        ;       Child Loop BB0_46 Depth 3
                                        ;         Child Loop BB0_49 Depth 4
                                        ;           Child Loop BB0_51 Depth 5
	s_mov_b32 s5, s25
                                        ; implicit-def: $vgpr6_vgpr7
	s_delay_alu instid0(SALU_CYCLE_1) | instskip(SKIP_1) | instid1(SALU_CYCLE_1)
	s_cmp_lg_u64 s[4:5], 0
	s_cselect_b32 s2, -1, 0
	s_and_saveexec_b32 s5, s2
	s_delay_alu instid0(SALU_CYCLE_1)
	s_xor_b32 s5, exec_lo, s5
	s_cbranch_execz .LBB0_32
; %bb.31:                               ;   in Loop: Header=BB0_30 Depth=2
	s_ashr_i32 s30, s25, 31
	s_mov_b32 s49, s4
	s_mov_b32 s31, s30
	;; [unrolled: 1-line block ×3, first 2 shown]
	s_add_nc_u64 s[34:35], s[24:25], s[30:31]
	v_add_nc_u64_e32 v[6:7], 0, v[0:1]
	s_xor_b64 s[34:35], s[34:35], s[30:31]
	v_mov_b32_e32 v9, v1
	s_cvt_f32_u32 s2, s34
	s_cvt_f32_u32 s31, s35
	s_sub_nc_u64 s[46:47], 0, s[34:35]
	s_delay_alu instid0(VALU_DEP_2) | instskip(NEXT) | instid1(SALU_CYCLE_1)
	v_dual_mov_b32 v11, v1 :: v_dual_mov_b32 v10, v7
	s_fmamk_f32 s2, s31, 0x4f800000, s2
	v_dual_mov_b32 v8, v6 :: v_dual_mov_b32 v21, v1
	s_delay_alu instid0(SALU_CYCLE_2) | instskip(NEXT) | instid1(TRANS32_DEP_1)
	v_s_rcp_f32 s2, s2
	s_mul_f32 s2, s2, 0x5f7ffffc
	s_delay_alu instid0(SALU_CYCLE_3) | instskip(NEXT) | instid1(SALU_CYCLE_3)
	s_mul_f32 s31, s2, 0x2f800000
	s_trunc_f32 s31, s31
	s_delay_alu instid0(SALU_CYCLE_3) | instskip(SKIP_1) | instid1(SALU_CYCLE_2)
	s_fmamk_f32 s2, s31, 0xcf800000, s2
	s_cvt_u32_f32 s45, s31
	s_cvt_u32_f32 s44, s2
	s_delay_alu instid0(SALU_CYCLE_3) | instskip(NEXT) | instid1(SALU_CYCLE_1)
	s_mul_u64 s[50:51], s[46:47], s[44:45]
	s_mul_hi_u32 s55, s44, s51
	s_mul_i32 s54, s44, s51
	s_mul_hi_u32 s48, s44, s50
	s_mul_i32 s31, s45, s50
	s_add_nc_u64 s[48:49], s[48:49], s[54:55]
	s_mul_hi_u32 s2, s45, s50
	s_mul_hi_u32 s43, s45, s51
	s_add_co_u32 s31, s48, s31
	s_add_co_ci_u32 s52, s49, s2
	s_mul_i32 s50, s45, s51
	s_add_co_ci_u32 s51, s43, 0
	s_delay_alu instid0(SALU_CYCLE_1) | instskip(SKIP_3) | instid1(SALU_CYCLE_1)
	s_add_nc_u64 s[48:49], s[52:53], s[50:51]
	s_mov_b32 s51, s4
	s_add_co_u32 s44, s44, s48
	s_cselect_b32 s2, -1, 0
	s_cmp_lg_u32 s2, 0
	s_add_co_ci_u32 s45, s45, s49
	s_mov_b32 s49, s4
	s_mul_u64 s[46:47], s[46:47], s[44:45]
	s_delay_alu instid0(SALU_CYCLE_1)
	s_mul_hi_u32 s53, s44, s47
	s_mul_i32 s52, s44, s47
	s_mul_hi_u32 s50, s44, s46
	s_mul_i32 s31, s45, s46
	s_add_nc_u64 s[50:51], s[50:51], s[52:53]
	s_mul_hi_u32 s2, s45, s46
	s_mul_hi_u32 s43, s45, s47
	s_add_co_u32 s31, s50, s31
	s_add_co_ci_u32 s48, s51, s2
	s_mul_i32 s46, s45, s47
	s_add_co_ci_u32 s47, s43, 0
	s_delay_alu instid0(SALU_CYCLE_1) | instskip(NEXT) | instid1(SALU_CYCLE_1)
	s_add_nc_u64 s[46:47], s[48:49], s[46:47]
	s_add_co_u32 s2, s44, s46
	s_cselect_b32 s31, -1, 0
	v_nop
	v_mul_hi_u32 v20, v6, s2
	s_cmp_lg_u32 s31, 0
	s_add_co_ci_u32 s48, s45, s47
	s_and_b64 s[44:45], s[2:3], s[12:13]
	v_mul_u64_e32 v[8:9], s[48:49], v[8:9]
	v_mul_u64_e32 v[12:13], s[44:45], v[10:11]
	;; [unrolled: 1-line block ×3, first 2 shown]
	s_delay_alu instid0(VALU_DEP_3) | instskip(NEXT) | instid1(VALU_DEP_1)
	v_add_nc_u64_e32 v[8:9], v[20:21], v[8:9]
	v_add_co_u32 v8, vcc_lo, v8, v12
	s_delay_alu instid0(VALU_DEP_2) | instskip(NEXT) | instid1(VALU_DEP_4)
	v_add_co_ci_u32_e32 v20, vcc_lo, v9, v13, vcc_lo
	v_add_co_ci_u32_e32 v11, vcc_lo, 0, v11, vcc_lo
	s_delay_alu instid0(VALU_DEP_1) | instskip(NEXT) | instid1(VALU_DEP_1)
	v_add_nc_u64_e32 v[8:9], v[20:21], v[10:11]
	v_mul_u64_e32 v[10:11], s[34:35], v[8:9]
	s_delay_alu instid0(VALU_DEP_1) | instskip(NEXT) | instid1(VALU_DEP_2)
	v_sub_nc_u32_e32 v12, v7, v11
	v_sub_co_u32 v6, vcc_lo, v6, v10
	s_delay_alu instid0(VALU_DEP_1) | instskip(NEXT) | instid1(VALU_DEP_3)
	v_sub_co_ci_u32_e64 v11, null, v7, v11, vcc_lo
	v_subrev_co_ci_u32_e64 v10, null, s35, v12, vcc_lo
	s_delay_alu instid0(VALU_DEP_3) | instskip(SKIP_1) | instid1(VALU_DEP_3)
	v_sub_co_u32 v19, s2, v6, s34
	v_cmp_le_u32_e32 vcc_lo, s34, v6
	v_subrev_co_ci_u32_e64 v10, null, 0, v10, s2
	s_delay_alu instid0(VALU_DEP_3) | instskip(SKIP_2) | instid1(VALU_DEP_4)
	v_cmp_le_u32_e64 s2, s34, v19
	v_add_nc_u64_e32 v[12:13], 2, v[8:9]
	v_cndmask_b32_e64 v21, 0, -1, vcc_lo
	v_cmp_eq_u32_e32 vcc_lo, s35, v10
	v_add_nc_u64_e32 v[6:7], 1, v[8:9]
	v_cndmask_b32_e64 v19, 0, -1, s2
	v_cmp_le_u32_e64 s2, s35, v10
	s_delay_alu instid0(VALU_DEP_1) | instskip(SKIP_1) | instid1(VALU_DEP_2)
	v_cndmask_b32_e64 v20, 0, -1, s2
	v_cmp_eq_u32_e64 s2, s35, v11
	v_cndmask_b32_e32 v10, v20, v19, vcc_lo
	v_cmp_le_u32_e32 vcc_lo, s35, v11
	v_cndmask_b32_e64 v19, 0, -1, vcc_lo
	s_delay_alu instid0(VALU_DEP_3) | instskip(NEXT) | instid1(VALU_DEP_2)
	v_cmp_ne_u32_e32 vcc_lo, 0, v10
	v_dual_cndmask_b32 v10, v19, v21, s2 :: v_dual_cndmask_b32 v6, v6, v12, vcc_lo
	v_cndmask_b32_e32 v7, v7, v13, vcc_lo
	s_delay_alu instid0(VALU_DEP_2) | instskip(NEXT) | instid1(VALU_DEP_2)
	v_cmp_ne_u32_e32 vcc_lo, 0, v10
	v_dual_cndmask_b32 v9, v9, v7 :: v_dual_cndmask_b32 v8, v8, v6
	v_dual_mov_b32 v7, s30 :: v_dual_mov_b32 v6, s30
	s_delay_alu instid0(VALU_DEP_2) | instskip(NEXT) | instid1(VALU_DEP_3)
	v_xor_b32_e32 v9, s30, v9
	v_xor_b32_e32 v8, s30, v8
	s_delay_alu instid0(VALU_DEP_1)
	v_sub_nc_u64_e32 v[6:7], v[8:9], v[6:7]
.LBB0_32:                               ;   in Loop: Header=BB0_30 Depth=2
	s_and_not1_saveexec_b32 s2, s5
	s_cbranch_execz .LBB0_34
; %bb.33:                               ;   in Loop: Header=BB0_30 Depth=2
	v_cvt_f32_u32_e32 v6, s24
	s_sub_co_i32 s5, 0, s24
	s_delay_alu instid0(VALU_DEP_1) | instskip(SKIP_1) | instid1(TRANS32_DEP_1)
	v_rcp_iflag_f32_e32 v6, v6
	v_nop
	v_mul_f32_e32 v6, 0x4f7ffffe, v6
	s_delay_alu instid0(VALU_DEP_1) | instskip(NEXT) | instid1(VALU_DEP_1)
	v_cvt_u32_f32_e32 v6, v6
	v_mul_lo_u32 v7, s5, v6
	s_delay_alu instid0(VALU_DEP_1) | instskip(NEXT) | instid1(VALU_DEP_1)
	v_mul_hi_u32 v7, v6, v7
	v_add_nc_u32_e32 v6, v6, v7
	s_delay_alu instid0(VALU_DEP_1) | instskip(NEXT) | instid1(VALU_DEP_1)
	v_mul_hi_u32 v6, v0, v6
	v_mul_lo_u32 v7, v6, s24
	s_delay_alu instid0(VALU_DEP_1) | instskip(NEXT) | instid1(VALU_DEP_1)
	v_dual_add_nc_u32 v8, 1, v6 :: v_dual_sub_nc_u32 v7, v0, v7
	v_subrev_nc_u32_e32 v9, s24, v7
	v_cmp_le_u32_e32 vcc_lo, s24, v7
	s_delay_alu instid0(VALU_DEP_2) | instskip(NEXT) | instid1(VALU_DEP_1)
	v_dual_cndmask_b32 v7, v7, v9 :: v_dual_cndmask_b32 v6, v6, v8
	v_cmp_le_u32_e32 vcc_lo, s24, v7
	s_delay_alu instid0(VALU_DEP_2) | instskip(NEXT) | instid1(VALU_DEP_1)
	v_dual_mov_b32 v7, v1 :: v_dual_add_nc_u32 v8, 1, v6
	v_cndmask_b32_e32 v6, v6, v8, vcc_lo
.LBB0_34:                               ;   in Loop: Header=BB0_30 Depth=2
	s_or_b32 exec_lo, exec_lo, s2
	s_delay_alu instid0(VALU_DEP_1) | instskip(NEXT) | instid1(VALU_DEP_1)
	v_mul_u64_e32 v[8:9], s[24:25], v[6:7]
	v_sub_nc_u64_e32 v[8:9], v[0:1], v[8:9]
	s_delay_alu instid0(VALU_DEP_1) | instskip(NEXT) | instid1(VALU_DEP_1)
	v_mul_u64_e32 v[10:11], s[14:15], v[8:9]
	v_dual_mov_b32 v8, v1 :: v_dual_bitop2_b32 v9, s25, v11 bitop3:0x54
	s_delay_alu instid0(VALU_DEP_1) | instskip(SKIP_1) | instid1(SALU_CYCLE_1)
	v_cmp_ne_u64_e32 vcc_lo, 0, v[8:9]
                                        ; implicit-def: $vgpr8_vgpr9
	s_and_saveexec_b32 s2, vcc_lo
	s_xor_b32 s5, exec_lo, s2
	s_cbranch_execz .LBB0_36
; %bb.35:                               ;   in Loop: Header=BB0_30 Depth=2
	s_ashr_i32 s30, s25, 31
	s_mov_b32 s49, s4
	s_mov_b32 s31, s30
	s_mov_b32 s53, s4
	s_add_nc_u64 s[34:35], s[24:25], s[30:31]
	v_dual_mov_b32 v13, v1 :: v_dual_ashrrev_i32 v8, 31, v11
	s_xor_b64 s[34:35], s[34:35], s[30:31]
	s_delay_alu instid0(SALU_CYCLE_1) | instskip(SKIP_3) | instid1(SALU_CYCLE_1)
	s_cvt_f32_u32 s2, s34
	s_cvt_f32_u32 s31, s35
	s_sub_nc_u64 s[46:47], 0, s[34:35]
	v_mov_b32_e32 v9, v8
	s_fmamk_f32 s2, s31, 0x4f800000, s2
	s_delay_alu instid0(VALU_DEP_1) | instskip(NEXT) | instid1(SALU_CYCLE_2)
	v_add_nc_u64_e32 v[10:11], v[10:11], v[8:9]
	v_s_rcp_f32 s2, s2
	s_delay_alu instid0(VALU_DEP_1) | instskip(NEXT) | instid1(VALU_DEP_2)
	v_dual_mov_b32 v23, v1 :: v_dual_bitop2_b32 v22, v11, v8 bitop3:0x14
	v_xor_b32_e32 v12, v10, v8
	s_delay_alu instid0(TRANS32_DEP_1) | instskip(SKIP_1) | instid1(SALU_CYCLE_2)
	s_mul_f32 s2, s2, 0x5f7ffffc
	v_mov_b32_e32 v27, v1
	s_mul_f32 s31, s2, 0x2f800000
	s_delay_alu instid0(SALU_CYCLE_3) | instskip(NEXT) | instid1(SALU_CYCLE_3)
	s_trunc_f32 s31, s31
	s_fmamk_f32 s2, s31, 0xcf800000, s2
	s_cvt_u32_f32 s45, s31
	s_delay_alu instid0(SALU_CYCLE_2) | instskip(NEXT) | instid1(SALU_CYCLE_3)
	s_cvt_u32_f32 s44, s2
	s_mul_u64 s[50:51], s[46:47], s[44:45]
	s_delay_alu instid0(SALU_CYCLE_1)
	s_mul_hi_u32 s55, s44, s51
	s_mul_i32 s54, s44, s51
	s_mul_hi_u32 s48, s44, s50
	s_mul_i32 s31, s45, s50
	s_add_nc_u64 s[48:49], s[48:49], s[54:55]
	s_mul_hi_u32 s2, s45, s50
	s_mul_hi_u32 s43, s45, s51
	s_add_co_u32 s31, s48, s31
	s_add_co_ci_u32 s52, s49, s2
	s_mul_i32 s50, s45, s51
	s_add_co_ci_u32 s51, s43, 0
	s_delay_alu instid0(SALU_CYCLE_1) | instskip(SKIP_3) | instid1(SALU_CYCLE_1)
	s_add_nc_u64 s[48:49], s[52:53], s[50:51]
	s_mov_b32 s51, s4
	s_add_co_u32 s44, s44, s48
	s_cselect_b32 s2, -1, 0
	s_cmp_lg_u32 s2, 0
	s_add_co_ci_u32 s45, s45, s49
	s_mov_b32 s49, s4
	s_mul_u64 s[46:47], s[46:47], s[44:45]
	s_delay_alu instid0(SALU_CYCLE_1)
	s_mul_hi_u32 s53, s44, s47
	s_mul_i32 s52, s44, s47
	s_mul_hi_u32 s50, s44, s46
	s_mul_i32 s31, s45, s46
	s_add_nc_u64 s[50:51], s[50:51], s[52:53]
	s_mul_hi_u32 s2, s45, s46
	s_mul_hi_u32 s43, s45, s47
	s_add_co_u32 s31, s50, s31
	s_add_co_ci_u32 s48, s51, s2
	s_mul_i32 s46, s45, s47
	s_add_co_ci_u32 s47, s43, 0
	s_delay_alu instid0(SALU_CYCLE_1) | instskip(NEXT) | instid1(SALU_CYCLE_1)
	s_add_nc_u64 s[46:47], s[48:49], s[46:47]
	s_add_co_u32 s2, s44, s46
	s_cselect_b32 s31, -1, 0
	v_mul_hi_u32 v26, v12, s2
	s_cmp_lg_u32 s31, 0
	s_add_co_ci_u32 s48, s45, s47
	s_and_b64 s[44:45], s[2:3], s[12:13]
	v_mul_u64_e32 v[20:21], s[48:49], v[12:13]
	v_mul_u64_e32 v[10:11], s[44:45], v[22:23]
	;; [unrolled: 1-line block ×3, first 2 shown]
	s_delay_alu instid0(VALU_DEP_3) | instskip(NEXT) | instid1(VALU_DEP_1)
	v_add_nc_u64_e32 v[20:21], v[26:27], v[20:21]
	v_add_co_u32 v7, vcc_lo, v20, v10
	s_delay_alu instid0(VALU_DEP_2) | instskip(NEXT) | instid1(VALU_DEP_4)
	v_add_co_ci_u32_e32 v26, vcc_lo, v21, v11, vcc_lo
	v_add_co_ci_u32_e32 v25, vcc_lo, 0, v25, vcc_lo
	s_delay_alu instid0(VALU_DEP_1) | instskip(NEXT) | instid1(VALU_DEP_1)
	v_add_nc_u64_e32 v[10:11], v[26:27], v[24:25]
	v_mul_u64_e32 v[20:21], s[34:35], v[10:11]
	s_delay_alu instid0(VALU_DEP_1) | instskip(NEXT) | instid1(VALU_DEP_2)
	v_sub_nc_u32_e32 v7, v22, v21
	v_sub_co_u32 v9, vcc_lo, v12, v20
	s_delay_alu instid0(VALU_DEP_1) | instskip(NEXT) | instid1(VALU_DEP_3)
	v_sub_co_ci_u32_e64 v19, null, v22, v21, vcc_lo
	v_subrev_co_ci_u32_e64 v7, null, s35, v7, vcc_lo
	s_delay_alu instid0(VALU_DEP_3) | instskip(SKIP_1) | instid1(VALU_DEP_3)
	v_sub_co_u32 v12, s2, v9, s34
	v_add_nc_u64_e32 v[20:21], 1, v[10:11]
	v_subrev_co_ci_u32_e64 v7, null, 0, v7, s2
	s_delay_alu instid0(VALU_DEP_3) | instskip(SKIP_1) | instid1(VALU_DEP_3)
	v_cmp_le_u32_e32 vcc_lo, s34, v12
	v_cndmask_b32_e64 v12, 0, -1, vcc_lo
	v_cmp_le_u32_e32 vcc_lo, s35, v7
	v_cndmask_b32_e64 v13, 0, -1, vcc_lo
	;; [unrolled: 2-line block ×4, first 2 shown]
	v_cmp_eq_u32_e32 vcc_lo, s35, v7
	v_cndmask_b32_e32 v7, v13, v12, vcc_lo
	v_cmp_eq_u32_e32 vcc_lo, s35, v19
	v_add_nc_u64_e32 v[12:13], 2, v[10:11]
	v_cndmask_b32_e32 v9, v22, v9, vcc_lo
	s_delay_alu instid0(VALU_DEP_4) | instskip(NEXT) | instid1(VALU_DEP_2)
	v_cmp_ne_u32_e32 vcc_lo, 0, v7
	v_cmp_ne_u32_e64 s2, 0, v9
	s_delay_alu instid0(VALU_DEP_4) | instskip(NEXT) | instid1(VALU_DEP_1)
	v_dual_cndmask_b32 v7, v21, v13, vcc_lo :: v_dual_cndmask_b32 v9, v20, v12, vcc_lo
	v_dual_cndmask_b32 v7, v11, v7, s2 :: v_dual_bitop2_b32 v8, s30, v8 bitop3:0x14
	s_delay_alu instid0(VALU_DEP_1) | instskip(NEXT) | instid1(VALU_DEP_2)
	v_dual_cndmask_b32 v10, v10, v9, s2 :: v_dual_mov_b32 v9, v8
	v_xor_b32_e32 v11, v7, v8
	s_delay_alu instid0(VALU_DEP_2) | instskip(NEXT) | instid1(VALU_DEP_1)
	v_xor_b32_e32 v10, v10, v8
	v_sub_nc_u64_e32 v[8:9], v[10:11], v[8:9]
                                        ; implicit-def: $vgpr10_vgpr11
.LBB0_36:                               ;   in Loop: Header=BB0_30 Depth=2
	s_and_not1_saveexec_b32 s2, s5
	s_cbranch_execz .LBB0_38
; %bb.37:                               ;   in Loop: Header=BB0_30 Depth=2
	v_cvt_f32_u32_e32 v7, s24
	s_sub_co_i32 s5, 0, s24
	s_delay_alu instid0(VALU_DEP_1) | instskip(SKIP_1) | instid1(TRANS32_DEP_1)
	v_rcp_iflag_f32_e32 v7, v7
	v_nop
	v_mul_f32_e32 v7, 0x4f7ffffe, v7
	s_delay_alu instid0(VALU_DEP_1) | instskip(NEXT) | instid1(VALU_DEP_1)
	v_cvt_u32_f32_e32 v7, v7
	v_mul_lo_u32 v8, s5, v7
	s_delay_alu instid0(VALU_DEP_1) | instskip(NEXT) | instid1(VALU_DEP_1)
	v_mul_hi_u32 v8, v7, v8
	v_add_nc_u32_e32 v7, v7, v8
	s_delay_alu instid0(VALU_DEP_1) | instskip(NEXT) | instid1(VALU_DEP_1)
	v_mul_hi_u32 v7, v10, v7
	v_mul_lo_u32 v8, v7, s24
	s_delay_alu instid0(VALU_DEP_1) | instskip(NEXT) | instid1(VALU_DEP_1)
	v_dual_add_nc_u32 v9, 1, v7 :: v_dual_sub_nc_u32 v8, v10, v8
	v_subrev_nc_u32_e32 v10, s24, v8
	v_cmp_le_u32_e32 vcc_lo, s24, v8
	s_delay_alu instid0(VALU_DEP_2) | instskip(NEXT) | instid1(VALU_DEP_1)
	v_dual_cndmask_b32 v8, v8, v10 :: v_dual_cndmask_b32 v7, v7, v9
	v_cmp_le_u32_e32 vcc_lo, s24, v8
	s_delay_alu instid0(VALU_DEP_2) | instskip(NEXT) | instid1(VALU_DEP_1)
	v_add_nc_u32_e32 v9, 1, v7
	v_cndmask_b32_e32 v8, v7, v9, vcc_lo
.LBB0_38:                               ;   in Loop: Header=BB0_30 Depth=2
	s_or_b32 exec_lo, exec_lo, s2
	v_dual_mov_b32 v12, v1 :: v_dual_add_nc_u32 v7, 1, v0
	s_delay_alu instid0(VALU_DEP_1) | instskip(NEXT) | instid1(VALU_DEP_1)
	v_mad_nc_u64_u32 v[10:11], v7, s14, -1
	v_mad_u32 v11, v7, s15, v11
	s_delay_alu instid0(VALU_DEP_1) | instskip(NEXT) | instid1(VALU_DEP_1)
	v_or_b32_e32 v13, s25, v11
	v_cmp_ne_u64_e32 vcc_lo, 0, v[12:13]
                                        ; implicit-def: $vgpr12_vgpr13
	s_and_saveexec_b32 s2, vcc_lo
	s_delay_alu instid0(SALU_CYCLE_1)
	s_xor_b32 s5, exec_lo, s2
	s_cbranch_execz .LBB0_40
; %bb.39:                               ;   in Loop: Header=BB0_30 Depth=2
	s_ashr_i32 s30, s25, 31
	s_mov_b32 s49, s4
	s_mov_b32 s31, s30
	;; [unrolled: 1-line block ×3, first 2 shown]
	s_add_nc_u64 s[34:35], s[24:25], s[30:31]
	v_dual_mov_b32 v21, v1 :: v_dual_ashrrev_i32 v12, 31, v11
	s_xor_b64 s[34:35], s[34:35], s[30:31]
	s_delay_alu instid0(SALU_CYCLE_1) | instskip(SKIP_3) | instid1(SALU_CYCLE_1)
	s_cvt_f32_u32 s2, s34
	s_cvt_f32_u32 s31, s35
	s_sub_nc_u64 s[46:47], 0, s[34:35]
	v_mov_b32_e32 v13, v12
	s_fmamk_f32 s2, s31, 0x4f800000, s2
	s_delay_alu instid0(VALU_DEP_1) | instskip(NEXT) | instid1(SALU_CYCLE_2)
	v_add_nc_u64_e32 v[10:11], v[10:11], v[12:13]
	v_s_rcp_f32 s2, s2
	s_delay_alu instid0(VALU_DEP_1) | instskip(NEXT) | instid1(VALU_DEP_2)
	v_dual_mov_b32 v25, v1 :: v_dual_bitop2_b32 v24, v11, v12 bitop3:0x14
	v_xor_b32_e32 v20, v10, v12
	s_delay_alu instid0(TRANS32_DEP_1) | instskip(SKIP_1) | instid1(SALU_CYCLE_2)
	s_mul_f32 s2, s2, 0x5f7ffffc
	v_dual_mov_b32 v29, v1 :: v_dual_bitop2_b32 v12, s30, v12 bitop3:0x14
	s_mul_f32 s31, s2, 0x2f800000
	s_delay_alu instid0(SALU_CYCLE_3) | instskip(NEXT) | instid1(SALU_CYCLE_3)
	s_trunc_f32 s31, s31
	s_fmamk_f32 s2, s31, 0xcf800000, s2
	s_cvt_u32_f32 s45, s31
	s_delay_alu instid0(SALU_CYCLE_2) | instskip(NEXT) | instid1(SALU_CYCLE_3)
	s_cvt_u32_f32 s44, s2
	s_mul_u64 s[50:51], s[46:47], s[44:45]
	s_delay_alu instid0(SALU_CYCLE_1)
	s_mul_hi_u32 s55, s44, s51
	s_mul_i32 s54, s44, s51
	s_mul_hi_u32 s48, s44, s50
	s_mul_i32 s31, s45, s50
	s_add_nc_u64 s[48:49], s[48:49], s[54:55]
	s_mul_hi_u32 s2, s45, s50
	s_mul_hi_u32 s43, s45, s51
	s_add_co_u32 s31, s48, s31
	s_add_co_ci_u32 s52, s49, s2
	s_mul_i32 s50, s45, s51
	s_add_co_ci_u32 s51, s43, 0
	s_delay_alu instid0(SALU_CYCLE_1) | instskip(SKIP_3) | instid1(SALU_CYCLE_1)
	s_add_nc_u64 s[48:49], s[52:53], s[50:51]
	s_mov_b32 s51, s4
	s_add_co_u32 s44, s44, s48
	s_cselect_b32 s2, -1, 0
	s_cmp_lg_u32 s2, 0
	s_add_co_ci_u32 s45, s45, s49
	s_mov_b32 s49, s4
	s_mul_u64 s[46:47], s[46:47], s[44:45]
	s_delay_alu instid0(SALU_CYCLE_1)
	s_mul_hi_u32 s53, s44, s47
	s_mul_i32 s52, s44, s47
	s_mul_hi_u32 s50, s44, s46
	s_mul_i32 s31, s45, s46
	s_add_nc_u64 s[50:51], s[50:51], s[52:53]
	s_mul_hi_u32 s2, s45, s46
	s_mul_hi_u32 s43, s45, s47
	s_add_co_u32 s31, s50, s31
	s_add_co_ci_u32 s48, s51, s2
	s_mul_i32 s46, s45, s47
	s_add_co_ci_u32 s47, s43, 0
	s_delay_alu instid0(SALU_CYCLE_1) | instskip(NEXT) | instid1(SALU_CYCLE_1)
	s_add_nc_u64 s[46:47], s[48:49], s[46:47]
	s_add_co_u32 s2, s44, s46
	s_cselect_b32 s31, -1, 0
	v_mul_hi_u32 v28, v20, s2
	s_cmp_lg_u32 s31, 0
	s_add_co_ci_u32 s48, s45, s47
	s_and_b64 s[44:45], s[2:3], s[12:13]
	v_mul_u64_e32 v[22:23], s[48:49], v[20:21]
	v_mul_u64_e32 v[10:11], s[44:45], v[24:25]
	;; [unrolled: 1-line block ×3, first 2 shown]
	s_delay_alu instid0(VALU_DEP_3) | instskip(NEXT) | instid1(VALU_DEP_1)
	v_add_nc_u64_e32 v[22:23], v[28:29], v[22:23]
	v_add_co_u32 v7, vcc_lo, v22, v10
	s_delay_alu instid0(VALU_DEP_2) | instskip(NEXT) | instid1(VALU_DEP_4)
	v_add_co_ci_u32_e32 v28, vcc_lo, v23, v11, vcc_lo
	v_add_co_ci_u32_e32 v27, vcc_lo, 0, v27, vcc_lo
	s_delay_alu instid0(VALU_DEP_1) | instskip(NEXT) | instid1(VALU_DEP_1)
	v_add_nc_u64_e32 v[10:11], v[28:29], v[26:27]
	v_mul_u64_e32 v[22:23], s[34:35], v[10:11]
	s_delay_alu instid0(VALU_DEP_1) | instskip(NEXT) | instid1(VALU_DEP_2)
	v_sub_nc_u32_e32 v7, v24, v23
	v_sub_co_u32 v9, vcc_lo, v20, v22
	s_delay_alu instid0(VALU_DEP_1) | instskip(NEXT) | instid1(VALU_DEP_3)
	v_sub_co_ci_u32_e64 v19, null, v24, v23, vcc_lo
	v_subrev_co_ci_u32_e64 v7, null, s35, v7, vcc_lo
	s_delay_alu instid0(VALU_DEP_3) | instskip(SKIP_1) | instid1(VALU_DEP_3)
	v_sub_co_u32 v13, s2, v9, s34
	v_add_nc_u64_e32 v[22:23], 1, v[10:11]
	v_subrev_co_ci_u32_e64 v7, null, 0, v7, s2
	s_delay_alu instid0(VALU_DEP_3) | instskip(SKIP_1) | instid1(VALU_DEP_3)
	v_cmp_le_u32_e32 vcc_lo, s34, v13
	v_cndmask_b32_e64 v13, 0, -1, vcc_lo
	v_cmp_le_u32_e32 vcc_lo, s35, v7
	v_cndmask_b32_e64 v20, 0, -1, vcc_lo
	v_cmp_le_u32_e32 vcc_lo, s34, v9
	v_cndmask_b32_e64 v9, 0, -1, vcc_lo
	v_cmp_le_u32_e32 vcc_lo, s35, v19
	v_cndmask_b32_e64 v24, 0, -1, vcc_lo
	v_cmp_eq_u32_e32 vcc_lo, s35, v7
	v_cndmask_b32_e32 v7, v20, v13, vcc_lo
	v_cmp_eq_u32_e32 vcc_lo, s35, v19
	v_add_nc_u64_e32 v[20:21], 2, v[10:11]
	v_mov_b32_e32 v13, v12
	v_cndmask_b32_e32 v9, v24, v9, vcc_lo
	v_cmp_ne_u32_e32 vcc_lo, 0, v7
	s_delay_alu instid0(VALU_DEP_2) | instskip(SKIP_1) | instid1(VALU_DEP_1)
	v_cmp_ne_u32_e64 s2, 0, v9
	v_dual_cndmask_b32 v7, v23, v21, vcc_lo :: v_dual_cndmask_b32 v9, v22, v20, vcc_lo
	v_dual_cndmask_b32 v7, v11, v7, s2 :: v_dual_cndmask_b32 v9, v10, v9, s2
	s_delay_alu instid0(VALU_DEP_1) | instskip(NEXT) | instid1(VALU_DEP_2)
	v_xor_b32_e32 v11, v7, v12
	v_xor_b32_e32 v10, v9, v12
	s_delay_alu instid0(VALU_DEP_1)
	v_sub_nc_u64_e32 v[12:13], v[10:11], v[12:13]
                                        ; implicit-def: $vgpr10_vgpr11
.LBB0_40:                               ;   in Loop: Header=BB0_30 Depth=2
	s_and_not1_saveexec_b32 s2, s5
	s_cbranch_execz .LBB0_42
; %bb.41:                               ;   in Loop: Header=BB0_30 Depth=2
	v_cvt_f32_u32_e32 v7, s24
	s_sub_co_i32 s5, 0, s24
	s_delay_alu instid0(VALU_DEP_1) | instskip(SKIP_1) | instid1(TRANS32_DEP_1)
	v_rcp_iflag_f32_e32 v7, v7
	v_nop
	v_mul_f32_e32 v7, 0x4f7ffffe, v7
	s_delay_alu instid0(VALU_DEP_1) | instskip(NEXT) | instid1(VALU_DEP_1)
	v_cvt_u32_f32_e32 v7, v7
	v_mul_lo_u32 v9, s5, v7
	s_delay_alu instid0(VALU_DEP_1) | instskip(NEXT) | instid1(VALU_DEP_1)
	v_mul_hi_u32 v9, v7, v9
	v_add_nc_u32_e32 v7, v7, v9
	s_delay_alu instid0(VALU_DEP_1) | instskip(NEXT) | instid1(VALU_DEP_1)
	v_mul_hi_u32 v7, v10, v7
	v_mul_lo_u32 v9, v7, s24
	s_delay_alu instid0(VALU_DEP_1) | instskip(NEXT) | instid1(VALU_DEP_1)
	v_dual_sub_nc_u32 v9, v10, v9 :: v_dual_add_nc_u32 v10, 1, v7
	v_subrev_nc_u32_e32 v11, s24, v9
	v_cmp_le_u32_e32 vcc_lo, s24, v9
	s_delay_alu instid0(VALU_DEP_2) | instskip(NEXT) | instid1(VALU_DEP_1)
	v_dual_cndmask_b32 v9, v9, v11, vcc_lo :: v_dual_cndmask_b32 v7, v7, v10, vcc_lo
	v_cmp_le_u32_e32 vcc_lo, s24, v9
	s_delay_alu instid0(VALU_DEP_2) | instskip(NEXT) | instid1(VALU_DEP_1)
	v_add_nc_u32_e32 v10, 1, v7
	v_cndmask_b32_e32 v12, v7, v10, vcc_lo
.LBB0_42:                               ;   in Loop: Header=BB0_30 Depth=2
	s_or_b32 exec_lo, exec_lo, s2
	v_mad_u32 v11, v6, s14, v8
	s_and_not1_b32 vcc_lo, exec_lo, s38
	s_delay_alu instid0(VALU_DEP_1) | instskip(NEXT) | instid1(VALU_DEP_1)
	v_sub_nc_u32_e32 v6, v12, v11
	v_add_nc_u32_e32 v10, 1, v6
	v_mov_b64_e32 v[6:7], 0
	s_cbranch_vccnz .LBB0_29
; %bb.43:                               ;   in Loop: Header=BB0_30 Depth=2
	s_mov_b32 s5, 0
	s_delay_alu instid0(VALU_DEP_2)
	v_cmp_lt_i32_e32 vcc_lo, 0, v10
	s_branch .LBB0_46
.LBB0_44:                               ;   in Loop: Header=BB0_46 Depth=3
	s_or_b32 exec_lo, exec_lo, s35
.LBB0_45:                               ;   in Loop: Header=BB0_46 Depth=3
	s_delay_alu instid0(SALU_CYCLE_1) | instskip(SKIP_1) | instid1(SALU_CYCLE_1)
	s_or_b32 exec_lo, exec_lo, s34
	s_add_co_i32 s5, s5, 1
	s_cmp_lt_i32 s5, s36
	s_cbranch_scc0 .LBB0_29
.LBB0_46:                               ;   Parent Loop BB0_15 Depth=1
                                        ;     Parent Loop BB0_30 Depth=2
                                        ; =>    This Loop Header: Depth=3
                                        ;         Child Loop BB0_49 Depth 4
                                        ;           Child Loop BB0_51 Depth 5
	s_and_saveexec_b32 s34, s1
	s_cbranch_execz .LBB0_45
; %bb.47:                               ;   in Loop: Header=BB0_46 Depth=3
	s_add_co_i32 s30, s5, s33
	s_mov_b32 s35, 0
	s_ashr_i32 s31, s30, 31
	s_mov_b32 s43, 0
	s_mul_u64 s[30:31], s[10:11], s[30:31]
	s_delay_alu instid0(SALU_CYCLE_1) | instskip(NEXT) | instid1(SALU_CYCLE_1)
	s_lshl_b64 s[30:31], s[30:31], 3
	s_add_nc_u64 s[30:31], s[8:9], s[30:31]
	s_branch .LBB0_49
.LBB0_48:                               ;   in Loop: Header=BB0_49 Depth=4
	s_or_b32 exec_lo, exec_lo, s44
	s_add_co_i32 s43, s43, 1
	s_delay_alu instid0(SALU_CYCLE_1) | instskip(SKIP_1) | instid1(SALU_CYCLE_1)
	v_cmp_ge_i32_e64 s2, s43, v17
	s_or_b32 s35, s2, s35
	s_and_not1_b32 exec_lo, exec_lo, s35
	s_cbranch_execz .LBB0_44
.LBB0_49:                               ;   Parent Loop BB0_15 Depth=1
                                        ;     Parent Loop BB0_30 Depth=2
                                        ;       Parent Loop BB0_46 Depth=3
                                        ; =>      This Loop Header: Depth=4
                                        ;           Child Loop BB0_51 Depth 5
	s_and_saveexec_b32 s44, vcc_lo
	s_cbranch_execz .LBB0_48
; %bb.50:                               ;   in Loop: Header=BB0_49 Depth=4
	v_add_nc_u32_e32 v8, s43, v3
	s_mov_b32 s45, 0
	s_mov_b32 s46, 0
	s_delay_alu instid0(VALU_DEP_1) | instskip(NEXT) | instid1(VALU_DEP_1)
	v_ashrrev_i32_e32 v9, 31, v8
	v_mul_u64_e32 v[8:9], s[16:17], v[8:9]
	s_delay_alu instid0(VALU_DEP_1)
	v_lshl_add_u64 v[8:9], v[8:9], 3, s[30:31]
.LBB0_51:                               ;   Parent Loop BB0_15 Depth=1
                                        ;     Parent Loop BB0_30 Depth=2
                                        ;       Parent Loop BB0_46 Depth=3
                                        ;         Parent Loop BB0_49 Depth=4
                                        ; =>        This Inner Loop Header: Depth=5
	v_add_nc_u32_e32 v12, s46, v11
	s_add_co_i32 s46, s46, 1
	s_delay_alu instid0(SALU_CYCLE_1) | instskip(NEXT) | instid1(VALU_DEP_2)
	v_cmp_ge_i32_e64 s2, s46, v10
	v_ashrrev_i32_e32 v13, 31, v12
	s_or_b32 s45, s2, s45
	s_delay_alu instid0(VALU_DEP_1) | instskip(NEXT) | instid1(VALU_DEP_1)
	v_mul_u64_e32 v[12:13], s[18:19], v[12:13]
	v_lshl_add_u64 v[12:13], v[12:13], 3, v[8:9]
	global_load_b64 v[12:13], v[12:13], off
	s_wait_loadcnt 0x0
	v_add_f64_e32 v[6:7], v[6:7], v[12:13]
	s_wait_xcnt 0x0
	s_and_not1_b32 exec_lo, exec_lo, s45
	s_cbranch_execnz .LBB0_51
; %bb.52:                               ;   in Loop: Header=BB0_49 Depth=4
	s_or_b32 exec_lo, exec_lo, s45
	s_branch .LBB0_48
.LBB0_53:
	s_endpgm
.LBB0_54:
                                        ; implicit-def: $sgpr22_sgpr23
	s_branch .LBB0_2
.LBB0_55:
                                        ; implicit-def: $sgpr26_sgpr27
	s_branch .LBB0_5
.LBB0_56:
                                        ; implicit-def: $sgpr30_sgpr31
	s_load_b32 s27, s[0:1], 0x6c
	s_branch .LBB0_8
.LBB0_57:
                                        ; implicit-def: $sgpr34_sgpr35
	s_load_b32 s41, s[0:1], 0x64
	s_branch .LBB0_12
	.section	.rodata,"a",@progbits
	.p2align	6, 0x0
	.amdhsa_kernel _ZN2at6native12_GLOBAL__N_119adaptiveaveragepoolIddEEvPKT_PS3_iiiiiilllllll
		.amdhsa_group_segment_fixed_size 0
		.amdhsa_private_segment_fixed_size 0
		.amdhsa_kernarg_size 352
		.amdhsa_user_sgpr_count 2
		.amdhsa_user_sgpr_dispatch_ptr 0
		.amdhsa_user_sgpr_queue_ptr 0
		.amdhsa_user_sgpr_kernarg_segment_ptr 1
		.amdhsa_user_sgpr_dispatch_id 0
		.amdhsa_user_sgpr_kernarg_preload_length 0
		.amdhsa_user_sgpr_kernarg_preload_offset 0
		.amdhsa_user_sgpr_private_segment_size 0
		.amdhsa_wavefront_size32 1
		.amdhsa_uses_dynamic_stack 0
		.amdhsa_enable_private_segment 0
		.amdhsa_system_sgpr_workgroup_id_x 1
		.amdhsa_system_sgpr_workgroup_id_y 1
		.amdhsa_system_sgpr_workgroup_id_z 0
		.amdhsa_system_sgpr_workgroup_info 0
		.amdhsa_system_vgpr_workitem_id 1
		.amdhsa_next_free_vgpr 30
		.amdhsa_next_free_sgpr 56
		.amdhsa_named_barrier_count 0
		.amdhsa_reserve_vcc 1
		.amdhsa_float_round_mode_32 0
		.amdhsa_float_round_mode_16_64 0
		.amdhsa_float_denorm_mode_32 3
		.amdhsa_float_denorm_mode_16_64 3
		.amdhsa_fp16_overflow 0
		.amdhsa_memory_ordered 1
		.amdhsa_forward_progress 1
		.amdhsa_inst_pref_size 62
		.amdhsa_round_robin_scheduling 0
		.amdhsa_exception_fp_ieee_invalid_op 0
		.amdhsa_exception_fp_denorm_src 0
		.amdhsa_exception_fp_ieee_div_zero 0
		.amdhsa_exception_fp_ieee_overflow 0
		.amdhsa_exception_fp_ieee_underflow 0
		.amdhsa_exception_fp_ieee_inexact 0
		.amdhsa_exception_int_div_zero 0
	.end_amdhsa_kernel
	.section	.text._ZN2at6native12_GLOBAL__N_119adaptiveaveragepoolIddEEvPKT_PS3_iiiiiilllllll,"axG",@progbits,_ZN2at6native12_GLOBAL__N_119adaptiveaveragepoolIddEEvPKT_PS3_iiiiiilllllll,comdat
.Lfunc_end0:
	.size	_ZN2at6native12_GLOBAL__N_119adaptiveaveragepoolIddEEvPKT_PS3_iiiiiilllllll, .Lfunc_end0-_ZN2at6native12_GLOBAL__N_119adaptiveaveragepoolIddEEvPKT_PS3_iiiiiilllllll
                                        ; -- End function
	.set _ZN2at6native12_GLOBAL__N_119adaptiveaveragepoolIddEEvPKT_PS3_iiiiiilllllll.num_vgpr, 30
	.set _ZN2at6native12_GLOBAL__N_119adaptiveaveragepoolIddEEvPKT_PS3_iiiiiilllllll.num_agpr, 0
	.set _ZN2at6native12_GLOBAL__N_119adaptiveaveragepoolIddEEvPKT_PS3_iiiiiilllllll.numbered_sgpr, 56
	.set _ZN2at6native12_GLOBAL__N_119adaptiveaveragepoolIddEEvPKT_PS3_iiiiiilllllll.num_named_barrier, 0
	.set _ZN2at6native12_GLOBAL__N_119adaptiveaveragepoolIddEEvPKT_PS3_iiiiiilllllll.private_seg_size, 0
	.set _ZN2at6native12_GLOBAL__N_119adaptiveaveragepoolIddEEvPKT_PS3_iiiiiilllllll.uses_vcc, 1
	.set _ZN2at6native12_GLOBAL__N_119adaptiveaveragepoolIddEEvPKT_PS3_iiiiiilllllll.uses_flat_scratch, 0
	.set _ZN2at6native12_GLOBAL__N_119adaptiveaveragepoolIddEEvPKT_PS3_iiiiiilllllll.has_dyn_sized_stack, 0
	.set _ZN2at6native12_GLOBAL__N_119adaptiveaveragepoolIddEEvPKT_PS3_iiiiiilllllll.has_recursion, 0
	.set _ZN2at6native12_GLOBAL__N_119adaptiveaveragepoolIddEEvPKT_PS3_iiiiiilllllll.has_indirect_call, 0
	.section	.AMDGPU.csdata,"",@progbits
; Kernel info:
; codeLenInByte = 7916
; TotalNumSgprs: 58
; NumVgprs: 30
; ScratchSize: 0
; MemoryBound: 0
; FloatMode: 240
; IeeeMode: 1
; LDSByteSize: 0 bytes/workgroup (compile time only)
; SGPRBlocks: 0
; VGPRBlocks: 1
; NumSGPRsForWavesPerEU: 58
; NumVGPRsForWavesPerEU: 30
; NamedBarCnt: 0
; Occupancy: 16
; WaveLimiterHint : 0
; COMPUTE_PGM_RSRC2:SCRATCH_EN: 0
; COMPUTE_PGM_RSRC2:USER_SGPR: 2
; COMPUTE_PGM_RSRC2:TRAP_HANDLER: 0
; COMPUTE_PGM_RSRC2:TGID_X_EN: 1
; COMPUTE_PGM_RSRC2:TGID_Y_EN: 1
; COMPUTE_PGM_RSRC2:TGID_Z_EN: 0
; COMPUTE_PGM_RSRC2:TIDIG_COMP_CNT: 1
	.section	.text._ZN2at6native12_GLOBAL__N_119adaptiveaveragepoolIffEEvPKT_PS3_iiiiiilllllll,"axG",@progbits,_ZN2at6native12_GLOBAL__N_119adaptiveaveragepoolIffEEvPKT_PS3_iiiiiilllllll,comdat
	.globl	_ZN2at6native12_GLOBAL__N_119adaptiveaveragepoolIffEEvPKT_PS3_iiiiiilllllll ; -- Begin function _ZN2at6native12_GLOBAL__N_119adaptiveaveragepoolIffEEvPKT_PS3_iiiiiilllllll
	.p2align	8
	.type	_ZN2at6native12_GLOBAL__N_119adaptiveaveragepoolIffEEvPKT_PS3_iiiiiilllllll,@function
_ZN2at6native12_GLOBAL__N_119adaptiveaveragepoolIffEEvPKT_PS3_iiiiiilllllll: ; @_ZN2at6native12_GLOBAL__N_119adaptiveaveragepoolIffEEvPKT_PS3_iiiiiilllllll
; %bb.0:
	s_clause 0x2
	s_load_b64 s[2:3], s[0:1], 0x58
	s_load_b128 s[12:15], s[0:1], 0x10
	s_load_b64 s[20:21], s[0:1], 0x20
	s_bfe_u32 s4, ttmp6, 0x4000c
	s_and_b32 s5, ttmp6, 15
	s_add_co_i32 s4, s4, 1
	s_getreg_b32 s28, hwreg(HW_REG_IB_STS2, 6, 4)
	s_mul_i32 s4, ttmp9, s4
	s_mov_b32 s7, 0
	s_add_co_i32 s5, s5, s4
	s_cmp_eq_u32 s28, 0
	s_cselect_b32 s6, ttmp9, s5
	s_wait_kmcnt 0x0
	s_add_nc_u64 s[2:3], s[2:3], s[6:7]
	s_ashr_i32 s5, s15, 31
	s_mov_b32 s4, s15
	s_delay_alu instid0(SALU_CYCLE_1) | instskip(NEXT) | instid1(SALU_CYCLE_1)
	s_or_b64 s[8:9], s[2:3], s[4:5]
	s_and_b64 s[8:9], s[8:9], 0xffffffff00000000
	s_delay_alu instid0(SALU_CYCLE_1)
	s_cmp_lg_u64 s[8:9], 0
	s_cbranch_scc0 .LBB1_55
; %bb.1:
	s_ashr_i32 s8, s5, 31
	s_delay_alu instid0(SALU_CYCLE_1) | instskip(NEXT) | instid1(SALU_CYCLE_1)
	s_mov_b32 s9, s8
	s_add_nc_u64 s[10:11], s[4:5], s[8:9]
	s_delay_alu instid0(SALU_CYCLE_1) | instskip(NEXT) | instid1(SALU_CYCLE_1)
	s_xor_b64 s[10:11], s[10:11], s[8:9]
	s_cvt_f32_u32 s6, s10
	s_cvt_f32_u32 s15, s11
	s_sub_nc_u64 s[18:19], 0, s[10:11]
	s_delay_alu instid0(SALU_CYCLE_2) | instskip(NEXT) | instid1(SALU_CYCLE_3)
	s_fmamk_f32 s6, s15, 0x4f800000, s6
	v_s_rcp_f32 s6, s6
	s_delay_alu instid0(TRANS32_DEP_1) | instskip(NEXT) | instid1(SALU_CYCLE_3)
	s_mul_f32 s6, s6, 0x5f7ffffc
	s_mul_f32 s15, s6, 0x2f800000
	s_delay_alu instid0(SALU_CYCLE_3) | instskip(NEXT) | instid1(SALU_CYCLE_3)
	s_trunc_f32 s15, s15
	s_fmamk_f32 s6, s15, 0xcf800000, s6
	s_cvt_u32_f32 s17, s15
	s_delay_alu instid0(SALU_CYCLE_2) | instskip(NEXT) | instid1(SALU_CYCLE_3)
	s_cvt_u32_f32 s16, s6
	s_mul_u64 s[22:23], s[18:19], s[16:17]
	s_delay_alu instid0(SALU_CYCLE_1)
	s_mul_hi_u32 s25, s16, s23
	s_mul_i32 s24, s16, s23
	s_mul_hi_u32 s6, s16, s22
	s_mul_i32 s26, s17, s22
	s_add_nc_u64 s[24:25], s[6:7], s[24:25]
	s_mul_hi_u32 s15, s17, s22
	s_mul_hi_u32 s27, s17, s23
	s_add_co_u32 s6, s24, s26
	s_add_co_ci_u32 s6, s25, s15
	s_mul_i32 s22, s17, s23
	s_add_co_ci_u32 s23, s27, 0
	s_delay_alu instid0(SALU_CYCLE_1) | instskip(NEXT) | instid1(SALU_CYCLE_1)
	s_add_nc_u64 s[22:23], s[6:7], s[22:23]
	s_add_co_u32 s16, s16, s22
	s_cselect_b32 s6, -1, 0
	s_delay_alu instid0(SALU_CYCLE_1) | instskip(SKIP_1) | instid1(SALU_CYCLE_1)
	s_cmp_lg_u32 s6, 0
	s_add_co_ci_u32 s17, s17, s23
	s_mul_u64 s[18:19], s[18:19], s[16:17]
	s_delay_alu instid0(SALU_CYCLE_1)
	s_mul_hi_u32 s23, s16, s19
	s_mul_i32 s22, s16, s19
	s_mul_hi_u32 s6, s16, s18
	s_mul_i32 s24, s17, s18
	s_add_nc_u64 s[22:23], s[6:7], s[22:23]
	s_mul_hi_u32 s15, s17, s18
	s_mul_hi_u32 s25, s17, s19
	s_add_co_u32 s6, s22, s24
	s_add_co_ci_u32 s6, s23, s15
	s_mul_i32 s18, s17, s19
	s_add_co_ci_u32 s19, s25, 0
	s_delay_alu instid0(SALU_CYCLE_1) | instskip(NEXT) | instid1(SALU_CYCLE_1)
	s_add_nc_u64 s[18:19], s[6:7], s[18:19]
	s_add_co_u32 s15, s16, s18
	s_cselect_b32 s6, -1, 0
	s_delay_alu instid0(SALU_CYCLE_1) | instskip(SKIP_2) | instid1(SALU_CYCLE_1)
	s_cmp_lg_u32 s6, 0
	s_add_co_ci_u32 s24, s17, s19
	s_ashr_i32 s16, s3, 31
	s_mov_b32 s17, s16
	s_delay_alu instid0(SALU_CYCLE_1) | instskip(NEXT) | instid1(SALU_CYCLE_1)
	s_add_nc_u64 s[18:19], s[2:3], s[16:17]
	s_xor_b64 s[18:19], s[18:19], s[16:17]
	s_delay_alu instid0(SALU_CYCLE_1)
	s_mul_hi_u32 s23, s18, s24
	s_mul_i32 s22, s18, s24
	s_mul_hi_u32 s6, s18, s15
	s_mul_hi_u32 s26, s19, s15
	s_mul_i32 s15, s19, s15
	s_add_nc_u64 s[22:23], s[6:7], s[22:23]
	s_mul_hi_u32 s25, s19, s24
	s_add_co_u32 s6, s22, s15
	s_add_co_ci_u32 s6, s23, s26
	s_mul_i32 s24, s19, s24
	s_add_co_ci_u32 s25, s25, 0
	s_delay_alu instid0(SALU_CYCLE_1) | instskip(NEXT) | instid1(SALU_CYCLE_1)
	s_add_nc_u64 s[22:23], s[6:7], s[24:25]
	s_and_b64 s[24:25], s[22:23], 0xffffffff00000000
	s_delay_alu instid0(SALU_CYCLE_1) | instskip(NEXT) | instid1(SALU_CYCLE_1)
	s_or_b32 s24, s24, s22
	s_mul_u64 s[22:23], s[10:11], s[24:25]
	s_add_nc_u64 s[30:31], s[24:25], 2
	s_sub_co_u32 s6, s18, s22
	s_cselect_b32 s15, -1, 0
	s_sub_co_i32 s18, s19, s23
	s_cmp_lg_u32 s15, 0
	s_sub_co_ci_u32 s18, s18, s11
	s_sub_co_u32 s22, s6, s10
	s_cselect_b32 s26, -1, 0
	s_delay_alu instid0(SALU_CYCLE_1) | instskip(SKIP_2) | instid1(SALU_CYCLE_1)
	s_cmp_lg_u32 s26, 0
	s_add_nc_u64 s[26:27], s[24:25], 1
	s_sub_co_ci_u32 s18, s18, 0
	s_cmp_ge_u32 s18, s11
	s_cselect_b32 s29, -1, 0
	s_cmp_ge_u32 s22, s10
	s_cselect_b32 s22, -1, 0
	s_cmp_eq_u32 s18, s11
	s_cselect_b32 s18, s22, s29
	s_delay_alu instid0(SALU_CYCLE_1) | instskip(SKIP_4) | instid1(SALU_CYCLE_1)
	s_cmp_lg_u32 s18, 0
	s_cselect_b32 s18, s30, s26
	s_cselect_b32 s22, s31, s27
	s_cmp_lg_u32 s15, 0
	s_sub_co_ci_u32 s15, s19, s23
	s_cmp_ge_u32 s15, s11
	s_cselect_b32 s19, -1, 0
	s_cmp_ge_u32 s6, s10
	s_cselect_b32 s6, -1, 0
	s_cmp_eq_u32 s15, s11
	s_cselect_b32 s6, s6, s19
	s_delay_alu instid0(SALU_CYCLE_1) | instskip(SKIP_3) | instid1(SALU_CYCLE_1)
	s_cmp_lg_u32 s6, 0
	s_cselect_b32 s11, s22, s25
	s_cselect_b32 s10, s18, s24
	s_xor_b64 s[8:9], s[16:17], s[8:9]
	s_xor_b64 s[10:11], s[10:11], s[8:9]
	s_delay_alu instid0(SALU_CYCLE_1)
	s_sub_nc_u64 s[22:23], s[10:11], s[8:9]
	s_and_not1_b32 vcc_lo, exec_lo, s7
	s_cbranch_vccnz .LBB1_3
.LBB1_2:
	v_cvt_f32_u32_e32 v1, s4
	s_sub_co_i32 s7, 0, s4
	s_mov_b32 s23, 0
	s_delay_alu instid0(VALU_DEP_1) | instskip(SKIP_1) | instid1(TRANS32_DEP_1)
	v_rcp_iflag_f32_e32 v1, v1
	v_nop
	v_mul_f32_e32 v1, 0x4f7ffffe, v1
	s_delay_alu instid0(VALU_DEP_1) | instskip(NEXT) | instid1(VALU_DEP_1)
	v_cvt_u32_f32_e32 v1, v1
	v_readfirstlane_b32 s6, v1
	s_mul_i32 s7, s7, s6
	s_delay_alu instid0(SALU_CYCLE_1) | instskip(NEXT) | instid1(SALU_CYCLE_1)
	s_mul_hi_u32 s7, s6, s7
	s_add_co_i32 s6, s6, s7
	s_delay_alu instid0(SALU_CYCLE_1) | instskip(NEXT) | instid1(SALU_CYCLE_1)
	s_mul_hi_u32 s6, s2, s6
	s_mul_i32 s7, s6, s4
	s_add_co_i32 s8, s6, 1
	s_sub_co_i32 s7, s2, s7
	s_delay_alu instid0(SALU_CYCLE_1)
	s_sub_co_i32 s9, s7, s4
	s_cmp_ge_u32 s7, s4
	s_cselect_b32 s6, s8, s6
	s_cselect_b32 s7, s9, s7
	s_add_co_i32 s8, s6, 1
	s_cmp_ge_u32 s7, s4
	s_cselect_b32 s22, s8, s6
.LBB1_3:
	s_abs_i32 s8, s4
	s_ashr_i32 s25, s12, 31
	s_cvt_f32_u32 s6, s8
	s_sub_co_i32 s10, 0, s8
	s_mov_b32 s24, s12
	s_delay_alu instid0(SALU_CYCLE_1) | instskip(SKIP_1) | instid1(TRANS32_DEP_1)
	v_rcp_iflag_f32_e32 v1, s6
	v_nop
	v_readfirstlane_b32 s6, v1
	s_mul_f32 s6, s6, 0x4f7ffffe
	s_delay_alu instid0(SALU_CYCLE_3) | instskip(SKIP_1) | instid1(SALU_CYCLE_1)
	s_cvt_u32_f32 s9, s6
	s_mul_u64 s[6:7], s[22:23], s[4:5]
	s_sub_nc_u64 s[6:7], s[2:3], s[6:7]
	s_delay_alu instid0(SALU_CYCLE_1) | instskip(SKIP_2) | instid1(SALU_CYCLE_1)
	s_mul_i32 s10, s10, s9
	s_abs_i32 s11, s6
	s_mul_hi_u32 s10, s9, s10
	s_add_co_i32 s9, s9, s10
	s_xor_b32 s10, s6, s4
	s_mul_hi_u32 s9, s11, s9
	s_ashr_i32 s10, s10, 31
	s_mul_i32 s15, s9, s8
	s_delay_alu instid0(SALU_CYCLE_1)
	s_sub_co_i32 s11, s11, s15
	s_add_co_i32 s15, s9, 1
	s_sub_co_i32 s16, s11, s8
	s_cmp_ge_u32 s11, s8
	s_cselect_b32 s9, s15, s9
	s_cselect_b32 s11, s16, s11
	s_add_co_i32 s15, s9, 1
	s_cmp_ge_u32 s11, s8
	s_cselect_b32 s8, s15, s9
	s_delay_alu instid0(SALU_CYCLE_1) | instskip(NEXT) | instid1(SALU_CYCLE_1)
	s_xor_b32 s8, s8, s10
	s_sub_co_i32 s15, s8, s10
	s_delay_alu instid0(SALU_CYCLE_1) | instskip(NEXT) | instid1(SALU_CYCLE_1)
	s_mul_i32 s8, s15, s4
	s_sub_co_i32 s8, s6, s8
	s_delay_alu instid0(SALU_CYCLE_1) | instskip(NEXT) | instid1(SALU_CYCLE_1)
	s_ashr_i32 s9, s8, 31
	s_mul_u64 s[8:9], s[8:9], s[24:25]
	s_delay_alu instid0(SALU_CYCLE_1) | instskip(NEXT) | instid1(SALU_CYCLE_1)
	s_or_b64 s[10:11], s[8:9], s[4:5]
	s_and_b64 s[10:11], s[10:11], 0xffffffff00000000
	s_delay_alu instid0(SALU_CYCLE_1)
	s_cmp_lg_u64 s[10:11], 0
	s_mov_b32 s11, 0
	s_cbranch_scc0 .LBB1_56
; %bb.4:
	s_ashr_i32 s16, s5, 31
	s_delay_alu instid0(SALU_CYCLE_1) | instskip(NEXT) | instid1(SALU_CYCLE_1)
	s_mov_b32 s17, s16
	s_add_nc_u64 s[18:19], s[4:5], s[16:17]
	s_delay_alu instid0(SALU_CYCLE_1) | instskip(NEXT) | instid1(SALU_CYCLE_1)
	s_xor_b64 s[18:19], s[18:19], s[16:17]
	s_cvt_f32_u32 s10, s18
	s_cvt_f32_u32 s12, s19
	s_sub_nc_u64 s[30:31], 0, s[18:19]
	s_delay_alu instid0(SALU_CYCLE_2) | instskip(NEXT) | instid1(SALU_CYCLE_3)
	s_fmamk_f32 s10, s12, 0x4f800000, s10
	v_s_rcp_f32 s10, s10
	s_delay_alu instid0(TRANS32_DEP_1) | instskip(NEXT) | instid1(SALU_CYCLE_3)
	s_mul_f32 s10, s10, 0x5f7ffffc
	s_mul_f32 s12, s10, 0x2f800000
	s_delay_alu instid0(SALU_CYCLE_3) | instskip(NEXT) | instid1(SALU_CYCLE_3)
	s_trunc_f32 s12, s12
	s_fmamk_f32 s10, s12, 0xcf800000, s10
	s_cvt_u32_f32 s27, s12
	s_delay_alu instid0(SALU_CYCLE_2) | instskip(NEXT) | instid1(SALU_CYCLE_3)
	s_cvt_u32_f32 s26, s10
	s_mul_u64 s[34:35], s[30:31], s[26:27]
	s_delay_alu instid0(SALU_CYCLE_1)
	s_mul_hi_u32 s37, s26, s35
	s_mul_i32 s36, s26, s35
	s_mul_hi_u32 s10, s26, s34
	s_mul_i32 s29, s27, s34
	s_add_nc_u64 s[36:37], s[10:11], s[36:37]
	s_mul_hi_u32 s12, s27, s34
	s_mul_hi_u32 s33, s27, s35
	s_add_co_u32 s10, s36, s29
	s_add_co_ci_u32 s10, s37, s12
	s_mul_i32 s34, s27, s35
	s_add_co_ci_u32 s35, s33, 0
	s_delay_alu instid0(SALU_CYCLE_1) | instskip(NEXT) | instid1(SALU_CYCLE_1)
	s_add_nc_u64 s[34:35], s[10:11], s[34:35]
	s_add_co_u32 s26, s26, s34
	s_cselect_b32 s10, -1, 0
	s_delay_alu instid0(SALU_CYCLE_1) | instskip(SKIP_1) | instid1(SALU_CYCLE_1)
	s_cmp_lg_u32 s10, 0
	s_add_co_ci_u32 s27, s27, s35
	s_mul_u64 s[30:31], s[30:31], s[26:27]
	s_delay_alu instid0(SALU_CYCLE_1)
	s_mul_hi_u32 s35, s26, s31
	s_mul_i32 s34, s26, s31
	s_mul_hi_u32 s10, s26, s30
	s_mul_i32 s29, s27, s30
	s_add_nc_u64 s[34:35], s[10:11], s[34:35]
	s_mul_hi_u32 s12, s27, s30
	s_mul_hi_u32 s33, s27, s31
	s_add_co_u32 s10, s34, s29
	s_add_co_ci_u32 s10, s35, s12
	s_mul_i32 s30, s27, s31
	s_add_co_ci_u32 s31, s33, 0
	s_delay_alu instid0(SALU_CYCLE_1) | instskip(NEXT) | instid1(SALU_CYCLE_1)
	s_add_nc_u64 s[30:31], s[10:11], s[30:31]
	s_add_co_u32 s12, s26, s30
	s_cselect_b32 s10, -1, 0
	s_delay_alu instid0(SALU_CYCLE_1) | instskip(SKIP_2) | instid1(SALU_CYCLE_1)
	s_cmp_lg_u32 s10, 0
	s_add_co_ci_u32 s29, s27, s31
	s_ashr_i32 s26, s9, 31
	s_mov_b32 s27, s26
	s_delay_alu instid0(SALU_CYCLE_1) | instskip(NEXT) | instid1(SALU_CYCLE_1)
	s_add_nc_u64 s[30:31], s[8:9], s[26:27]
	s_xor_b64 s[30:31], s[30:31], s[26:27]
	s_delay_alu instid0(SALU_CYCLE_1)
	s_mul_hi_u32 s35, s30, s29
	s_mul_i32 s34, s30, s29
	s_mul_hi_u32 s10, s30, s12
	s_mul_hi_u32 s33, s31, s12
	s_mul_i32 s12, s31, s12
	s_add_nc_u64 s[34:35], s[10:11], s[34:35]
	s_mul_hi_u32 s9, s31, s29
	s_add_co_u32 s10, s34, s12
	s_add_co_ci_u32 s10, s35, s33
	s_mul_i32 s36, s31, s29
	s_add_co_ci_u32 s37, s9, 0
	s_delay_alu instid0(SALU_CYCLE_1) | instskip(NEXT) | instid1(SALU_CYCLE_1)
	s_add_nc_u64 s[34:35], s[10:11], s[36:37]
	s_and_b64 s[36:37], s[34:35], 0xffffffff00000000
	s_delay_alu instid0(SALU_CYCLE_1) | instskip(NEXT) | instid1(SALU_CYCLE_1)
	s_or_b32 s36, s36, s34
	s_mul_u64 s[34:35], s[18:19], s[36:37]
	s_add_nc_u64 s[38:39], s[36:37], 1
	s_sub_co_u32 s9, s30, s34
	s_cselect_b32 s10, -1, 0
	s_sub_co_i32 s12, s31, s35
	s_cmp_lg_u32 s10, 0
	s_add_nc_u64 s[40:41], s[36:37], 2
	s_sub_co_ci_u32 s12, s12, s19
	s_sub_co_u32 s29, s9, s18
	s_cselect_b32 s30, -1, 0
	s_delay_alu instid0(SALU_CYCLE_1) | instskip(SKIP_1) | instid1(SALU_CYCLE_1)
	s_cmp_lg_u32 s30, 0
	s_sub_co_ci_u32 s12, s12, 0
	s_cmp_ge_u32 s12, s19
	s_cselect_b32 s30, -1, 0
	s_cmp_ge_u32 s29, s18
	s_cselect_b32 s29, -1, 0
	s_cmp_eq_u32 s12, s19
	s_cselect_b32 s12, s29, s30
	s_delay_alu instid0(SALU_CYCLE_1) | instskip(SKIP_4) | instid1(SALU_CYCLE_1)
	s_cmp_lg_u32 s12, 0
	s_cselect_b32 s12, s40, s38
	s_cselect_b32 s29, s41, s39
	s_cmp_lg_u32 s10, 0
	s_sub_co_ci_u32 s10, s31, s35
	s_cmp_ge_u32 s10, s19
	s_cselect_b32 s30, -1, 0
	s_cmp_ge_u32 s9, s18
	s_cselect_b32 s9, -1, 0
	s_cmp_eq_u32 s10, s19
	s_cselect_b32 s9, s9, s30
	s_delay_alu instid0(SALU_CYCLE_1) | instskip(SKIP_3) | instid1(SALU_CYCLE_1)
	s_cmp_lg_u32 s9, 0
	s_cselect_b32 s19, s29, s37
	s_cselect_b32 s18, s12, s36
	s_xor_b64 s[16:17], s[26:27], s[16:17]
	s_xor_b64 s[18:19], s[18:19], s[16:17]
	s_delay_alu instid0(SALU_CYCLE_1)
	s_sub_nc_u64 s[26:27], s[18:19], s[16:17]
	s_and_not1_b32 vcc_lo, exec_lo, s11
	s_cbranch_vccnz .LBB1_6
.LBB1_5:
	v_cvt_f32_u32_e32 v1, s4
	s_sub_co_i32 s10, 0, s4
	s_delay_alu instid0(VALU_DEP_1) | instskip(SKIP_1) | instid1(TRANS32_DEP_1)
	v_rcp_iflag_f32_e32 v1, v1
	v_nop
	v_mul_f32_e32 v1, 0x4f7ffffe, v1
	s_delay_alu instid0(VALU_DEP_1) | instskip(NEXT) | instid1(VALU_DEP_1)
	v_cvt_u32_f32_e32 v1, v1
	v_readfirstlane_b32 s9, v1
	s_mul_i32 s10, s10, s9
	s_delay_alu instid0(SALU_CYCLE_1) | instskip(NEXT) | instid1(SALU_CYCLE_1)
	s_mul_hi_u32 s10, s9, s10
	s_add_co_i32 s9, s9, s10
	s_delay_alu instid0(SALU_CYCLE_1) | instskip(NEXT) | instid1(SALU_CYCLE_1)
	s_mul_hi_u32 s9, s8, s9
	s_mul_i32 s10, s9, s4
	s_delay_alu instid0(SALU_CYCLE_1)
	s_sub_co_i32 s8, s8, s10
	s_add_co_i32 s10, s9, 1
	s_sub_co_i32 s11, s8, s4
	s_cmp_ge_u32 s8, s4
	s_cselect_b32 s9, s10, s9
	s_cselect_b32 s8, s11, s8
	s_add_co_i32 s10, s9, 1
	s_cmp_ge_u32 s8, s4
	s_cselect_b32 s26, s10, s9
.LBB1_6:
	s_add_nc_u64 s[6:7], s[6:7], 1
	s_delay_alu instid0(SALU_CYCLE_1) | instskip(NEXT) | instid1(SALU_CYCLE_1)
	s_mul_u64 s[6:7], s[6:7], s[24:25]
	s_add_nc_u64 s[6:7], s[6:7], -1
	s_delay_alu instid0(SALU_CYCLE_1) | instskip(NEXT) | instid1(SALU_CYCLE_1)
	s_or_b64 s[8:9], s[6:7], s[4:5]
	s_and_b64 s[8:9], s[8:9], 0xffffffff00000000
	s_delay_alu instid0(SALU_CYCLE_1)
	s_cmp_lg_u64 s[8:9], 0
	s_cbranch_scc0 .LBB1_57
; %bb.7:
	s_ashr_i32 s8, s5, 31
	s_delay_alu instid0(SALU_CYCLE_1) | instskip(NEXT) | instid1(SALU_CYCLE_1)
	s_mov_b32 s9, s8
	s_add_nc_u64 s[10:11], s[4:5], s[8:9]
	s_delay_alu instid0(SALU_CYCLE_1) | instskip(SKIP_4) | instid1(SALU_CYCLE_2)
	s_xor_b64 s[16:17], s[10:11], s[8:9]
	s_mov_b32 s11, 0
	s_cvt_f32_u32 s5, s16
	s_cvt_f32_u32 s10, s17
	s_sub_nc_u64 s[30:31], 0, s[16:17]
	s_fmamk_f32 s5, s10, 0x4f800000, s5
	s_delay_alu instid0(SALU_CYCLE_3) | instskip(NEXT) | instid1(TRANS32_DEP_1)
	v_s_rcp_f32 s5, s5
	s_mul_f32 s5, s5, 0x5f7ffffc
	s_delay_alu instid0(SALU_CYCLE_3) | instskip(NEXT) | instid1(SALU_CYCLE_3)
	s_mul_f32 s10, s5, 0x2f800000
	s_trunc_f32 s10, s10
	s_delay_alu instid0(SALU_CYCLE_3) | instskip(SKIP_1) | instid1(SALU_CYCLE_2)
	s_fmamk_f32 s5, s10, 0xcf800000, s5
	s_cvt_u32_f32 s19, s10
	s_cvt_u32_f32 s18, s5
	s_delay_alu instid0(SALU_CYCLE_3) | instskip(NEXT) | instid1(SALU_CYCLE_1)
	s_mul_u64 s[34:35], s[30:31], s[18:19]
	s_mul_hi_u32 s37, s18, s35
	s_mul_i32 s36, s18, s35
	s_mul_hi_u32 s10, s18, s34
	s_mul_i32 s12, s19, s34
	s_add_nc_u64 s[36:37], s[10:11], s[36:37]
	s_mul_hi_u32 s5, s19, s34
	s_mul_hi_u32 s25, s19, s35
	s_add_co_u32 s10, s36, s12
	s_add_co_ci_u32 s10, s37, s5
	s_mul_i32 s34, s19, s35
	s_add_co_ci_u32 s35, s25, 0
	s_delay_alu instid0(SALU_CYCLE_1) | instskip(NEXT) | instid1(SALU_CYCLE_1)
	s_add_nc_u64 s[34:35], s[10:11], s[34:35]
	s_add_co_u32 s18, s18, s34
	s_cselect_b32 s5, -1, 0
	s_delay_alu instid0(SALU_CYCLE_1) | instskip(SKIP_1) | instid1(SALU_CYCLE_1)
	s_cmp_lg_u32 s5, 0
	s_add_co_ci_u32 s19, s19, s35
	s_mul_u64 s[30:31], s[30:31], s[18:19]
	s_delay_alu instid0(SALU_CYCLE_1)
	s_mul_hi_u32 s35, s18, s31
	s_mul_i32 s34, s18, s31
	s_mul_hi_u32 s10, s18, s30
	s_mul_i32 s12, s19, s30
	s_add_nc_u64 s[34:35], s[10:11], s[34:35]
	s_mul_hi_u32 s5, s19, s30
	s_mul_hi_u32 s25, s19, s31
	s_add_co_u32 s10, s34, s12
	s_add_co_ci_u32 s10, s35, s5
	s_mul_i32 s30, s19, s31
	s_add_co_ci_u32 s31, s25, 0
	s_delay_alu instid0(SALU_CYCLE_1) | instskip(NEXT) | instid1(SALU_CYCLE_1)
	s_add_nc_u64 s[30:31], s[10:11], s[30:31]
	s_add_co_u32 s5, s18, s30
	s_cselect_b32 s10, -1, 0
	s_delay_alu instid0(SALU_CYCLE_1) | instskip(SKIP_2) | instid1(SALU_CYCLE_1)
	s_cmp_lg_u32 s10, 0
	s_add_co_ci_u32 s12, s19, s31
	s_ashr_i32 s18, s7, 31
	s_mov_b32 s19, s18
	s_delay_alu instid0(SALU_CYCLE_1) | instskip(NEXT) | instid1(SALU_CYCLE_1)
	s_add_nc_u64 s[30:31], s[6:7], s[18:19]
	s_xor_b64 s[30:31], s[30:31], s[18:19]
	s_delay_alu instid0(SALU_CYCLE_1)
	s_mul_hi_u32 s35, s30, s12
	s_mul_i32 s34, s30, s12
	s_mul_hi_u32 s10, s30, s5
	s_mul_hi_u32 s25, s31, s5
	s_mul_i32 s5, s31, s5
	s_add_nc_u64 s[34:35], s[10:11], s[34:35]
	s_mul_hi_u32 s7, s31, s12
	s_add_co_u32 s5, s34, s5
	s_add_co_ci_u32 s10, s35, s25
	s_mul_i32 s36, s31, s12
	s_add_co_ci_u32 s37, s7, 0
	s_delay_alu instid0(SALU_CYCLE_1) | instskip(NEXT) | instid1(SALU_CYCLE_1)
	s_add_nc_u64 s[34:35], s[10:11], s[36:37]
	s_and_b64 s[36:37], s[34:35], 0xffffffff00000000
	s_delay_alu instid0(SALU_CYCLE_1) | instskip(NEXT) | instid1(SALU_CYCLE_1)
	s_or_b32 s36, s36, s34
	s_mul_u64 s[34:35], s[16:17], s[36:37]
	s_add_nc_u64 s[38:39], s[36:37], 1
	s_sub_co_u32 s5, s30, s34
	s_cselect_b32 s7, -1, 0
	s_sub_co_i32 s10, s31, s35
	s_cmp_lg_u32 s7, 0
	s_add_nc_u64 s[40:41], s[36:37], 2
	s_sub_co_ci_u32 s10, s10, s17
	s_sub_co_u32 s12, s5, s16
	s_cselect_b32 s25, -1, 0
	s_delay_alu instid0(SALU_CYCLE_1) | instskip(SKIP_1) | instid1(SALU_CYCLE_1)
	s_cmp_lg_u32 s25, 0
	s_sub_co_ci_u32 s10, s10, 0
	s_cmp_ge_u32 s10, s17
	s_cselect_b32 s25, -1, 0
	s_cmp_ge_u32 s12, s16
	s_cselect_b32 s12, -1, 0
	s_cmp_eq_u32 s10, s17
	s_cselect_b32 s10, s12, s25
	s_delay_alu instid0(SALU_CYCLE_1) | instskip(SKIP_4) | instid1(SALU_CYCLE_1)
	s_cmp_lg_u32 s10, 0
	s_cselect_b32 s10, s40, s38
	s_cselect_b32 s12, s41, s39
	s_cmp_lg_u32 s7, 0
	s_sub_co_ci_u32 s7, s31, s35
	s_cmp_ge_u32 s7, s17
	s_cselect_b32 s25, -1, 0
	s_cmp_ge_u32 s5, s16
	s_cselect_b32 s5, -1, 0
	s_cmp_eq_u32 s7, s17
	s_cselect_b32 s5, s5, s25
	s_delay_alu instid0(SALU_CYCLE_1) | instskip(SKIP_3) | instid1(SALU_CYCLE_1)
	s_cmp_lg_u32 s5, 0
	s_cselect_b32 s17, s12, s37
	s_cselect_b32 s16, s10, s36
	s_xor_b64 s[8:9], s[18:19], s[8:9]
	s_xor_b64 s[16:17], s[16:17], s[8:9]
	s_delay_alu instid0(SALU_CYCLE_1)
	s_sub_nc_u64 s[30:31], s[16:17], s[8:9]
	s_load_b32 s27, s[0:1], 0x6c
	s_cbranch_execnz .LBB1_9
.LBB1_8:
	v_cvt_f32_u32_e32 v1, s4
	s_sub_co_i32 s7, 0, s4
	s_delay_alu instid0(VALU_DEP_1) | instskip(SKIP_1) | instid1(TRANS32_DEP_1)
	v_rcp_iflag_f32_e32 v1, v1
	v_nop
	v_mul_f32_e32 v1, 0x4f7ffffe, v1
	s_delay_alu instid0(VALU_DEP_1) | instskip(NEXT) | instid1(VALU_DEP_1)
	v_cvt_u32_f32_e32 v1, v1
	v_readfirstlane_b32 s5, v1
	s_mul_i32 s7, s7, s5
	s_delay_alu instid0(SALU_CYCLE_1) | instskip(NEXT) | instid1(SALU_CYCLE_1)
	s_mul_hi_u32 s7, s5, s7
	s_add_co_i32 s5, s5, s7
	s_delay_alu instid0(SALU_CYCLE_1) | instskip(NEXT) | instid1(SALU_CYCLE_1)
	s_mul_hi_u32 s5, s6, s5
	s_mul_i32 s7, s5, s4
	s_delay_alu instid0(SALU_CYCLE_1)
	s_sub_co_i32 s6, s6, s7
	s_add_co_i32 s7, s5, 1
	s_sub_co_i32 s8, s6, s4
	s_cmp_ge_u32 s6, s4
	s_cselect_b32 s5, s7, s5
	s_cselect_b32 s6, s8, s6
	s_add_co_i32 s7, s5, 1
	s_cmp_ge_u32 s6, s4
	s_cselect_b32 s30, s7, s5
.LBB1_9:
	s_bfe_u32 s4, ttmp6, 0x40010
	s_bfe_u32 s5, ttmp6, 0x40004
	s_add_co_i32 s4, s4, 1
	s_wait_kmcnt 0x0
	s_lshr_b32 s12, s27, 16
	s_mul_i32 s4, ttmp7, s4
	v_bfe_u32 v1, v0, 10, 10
	s_add_co_i32 s5, s5, s4
	s_cmp_eq_u32 s28, 0
	s_cselect_b32 s4, ttmp7, s5
	s_delay_alu instid0(VALU_DEP_1) | instid1(SALU_CYCLE_1)
	v_mad_u32 v2, s4, s12, v1
	s_mov_b32 s4, exec_lo
	s_delay_alu instid0(VALU_DEP_1)
	v_cmpx_gt_i32_e64 s20, v2
	s_cbranch_execz .LBB1_54
; %bb.10:
	s_clause 0x1
	s_load_b256 s[4:11], s[0:1], 0x28
	s_load_b128 s[16:19], s[0:1], 0x48
	s_bfe_i64 s[28:29], s[22:23], 0x200000
	s_wait_kmcnt 0x0
	s_or_b64 s[34:35], s[28:29], s[4:5]
	s_delay_alu instid0(SALU_CYCLE_1) | instskip(NEXT) | instid1(SALU_CYCLE_1)
	s_and_b64 s[34:35], s[34:35], 0xffffffff00000000
	s_cmp_lg_u64 s[34:35], 0
	s_cbranch_scc0 .LBB1_58
; %bb.11:
	s_ashr_i32 s34, s5, 31
	s_delay_alu instid0(SALU_CYCLE_1) | instskip(NEXT) | instid1(SALU_CYCLE_1)
	s_mov_b32 s35, s34
	s_add_nc_u64 s[36:37], s[4:5], s[34:35]
	s_delay_alu instid0(SALU_CYCLE_1) | instskip(SKIP_4) | instid1(SALU_CYCLE_2)
	s_xor_b64 s[38:39], s[36:37], s[34:35]
	s_mov_b32 s37, 0
	s_cvt_f32_u32 s23, s38
	s_cvt_f32_u32 s25, s39
	s_sub_nc_u64 s[42:43], 0, s[38:39]
	s_fmamk_f32 s23, s25, 0x4f800000, s23
	s_delay_alu instid0(SALU_CYCLE_3) | instskip(NEXT) | instid1(TRANS32_DEP_1)
	v_s_rcp_f32 s23, s23
	s_mul_f32 s23, s23, 0x5f7ffffc
	s_delay_alu instid0(SALU_CYCLE_3) | instskip(NEXT) | instid1(SALU_CYCLE_3)
	s_mul_f32 s25, s23, 0x2f800000
	s_trunc_f32 s25, s25
	s_delay_alu instid0(SALU_CYCLE_3) | instskip(SKIP_1) | instid1(SALU_CYCLE_2)
	s_fmamk_f32 s23, s25, 0xcf800000, s23
	s_cvt_u32_f32 s41, s25
	s_cvt_u32_f32 s40, s23
	s_delay_alu instid0(SALU_CYCLE_3) | instskip(NEXT) | instid1(SALU_CYCLE_1)
	s_mul_u64 s[44:45], s[42:43], s[40:41]
	s_mul_hi_u32 s47, s40, s45
	s_mul_i32 s46, s40, s45
	s_mul_hi_u32 s36, s40, s44
	s_mul_i32 s25, s41, s44
	s_add_nc_u64 s[46:47], s[36:37], s[46:47]
	s_mul_hi_u32 s23, s41, s44
	s_mul_hi_u32 s31, s41, s45
	s_add_co_u32 s25, s46, s25
	s_add_co_ci_u32 s36, s47, s23
	s_mul_i32 s44, s41, s45
	s_add_co_ci_u32 s45, s31, 0
	s_delay_alu instid0(SALU_CYCLE_1) | instskip(NEXT) | instid1(SALU_CYCLE_1)
	s_add_nc_u64 s[44:45], s[36:37], s[44:45]
	s_add_co_u32 s40, s40, s44
	s_cselect_b32 s23, -1, 0
	s_delay_alu instid0(SALU_CYCLE_1) | instskip(SKIP_1) | instid1(SALU_CYCLE_1)
	s_cmp_lg_u32 s23, 0
	s_add_co_ci_u32 s41, s41, s45
	s_mul_u64 s[42:43], s[42:43], s[40:41]
	s_delay_alu instid0(SALU_CYCLE_1)
	s_mul_hi_u32 s45, s40, s43
	s_mul_i32 s44, s40, s43
	s_mul_hi_u32 s36, s40, s42
	s_mul_i32 s25, s41, s42
	s_add_nc_u64 s[44:45], s[36:37], s[44:45]
	s_mul_hi_u32 s23, s41, s42
	s_mul_hi_u32 s31, s41, s43
	s_add_co_u32 s25, s44, s25
	s_add_co_ci_u32 s36, s45, s23
	s_mul_i32 s42, s41, s43
	s_add_co_ci_u32 s43, s31, 0
	s_delay_alu instid0(SALU_CYCLE_1) | instskip(NEXT) | instid1(SALU_CYCLE_1)
	s_add_nc_u64 s[42:43], s[36:37], s[42:43]
	s_add_co_u32 s23, s40, s42
	s_cselect_b32 s25, -1, 0
	s_delay_alu instid0(SALU_CYCLE_1) | instskip(SKIP_2) | instid1(SALU_CYCLE_1)
	s_cmp_lg_u32 s25, 0
	s_add_co_ci_u32 s25, s41, s43
	s_ashr_i32 s40, s29, 31
	s_mov_b32 s41, s40
	s_delay_alu instid0(SALU_CYCLE_1) | instskip(NEXT) | instid1(SALU_CYCLE_1)
	s_add_nc_u64 s[42:43], s[28:29], s[40:41]
	s_xor_b64 s[42:43], s[42:43], s[40:41]
	s_delay_alu instid0(SALU_CYCLE_1)
	s_mul_hi_u32 s45, s42, s25
	s_mul_i32 s44, s42, s25
	s_mul_hi_u32 s36, s42, s23
	s_mul_hi_u32 s33, s43, s23
	s_mul_i32 s23, s43, s23
	s_add_nc_u64 s[44:45], s[36:37], s[44:45]
	s_mul_hi_u32 s31, s43, s25
	s_add_co_u32 s23, s44, s23
	s_add_co_ci_u32 s36, s45, s33
	s_mul_i32 s46, s43, s25
	s_add_co_ci_u32 s47, s31, 0
	s_delay_alu instid0(SALU_CYCLE_1) | instskip(NEXT) | instid1(SALU_CYCLE_1)
	s_add_nc_u64 s[44:45], s[36:37], s[46:47]
	s_and_b64 s[46:47], s[44:45], 0xffffffff00000000
	s_delay_alu instid0(SALU_CYCLE_1) | instskip(NEXT) | instid1(SALU_CYCLE_1)
	s_or_b32 s46, s46, s44
	s_mul_u64 s[44:45], s[38:39], s[46:47]
	s_add_nc_u64 s[48:49], s[46:47], 1
	s_sub_co_u32 s23, s42, s44
	s_cselect_b32 s25, -1, 0
	s_sub_co_i32 s31, s43, s45
	s_cmp_lg_u32 s25, 0
	s_add_nc_u64 s[50:51], s[46:47], 2
	s_sub_co_ci_u32 s31, s31, s39
	s_sub_co_u32 s33, s23, s38
	s_cselect_b32 s36, -1, 0
	s_delay_alu instid0(SALU_CYCLE_1) | instskip(SKIP_1) | instid1(SALU_CYCLE_1)
	s_cmp_lg_u32 s36, 0
	s_sub_co_ci_u32 s31, s31, 0
	s_cmp_ge_u32 s31, s39
	s_cselect_b32 s36, -1, 0
	s_cmp_ge_u32 s33, s38
	s_cselect_b32 s33, -1, 0
	s_cmp_eq_u32 s31, s39
	s_cselect_b32 s31, s33, s36
	s_delay_alu instid0(SALU_CYCLE_1) | instskip(SKIP_4) | instid1(SALU_CYCLE_1)
	s_cmp_lg_u32 s31, 0
	s_cselect_b32 s31, s50, s48
	s_cselect_b32 s33, s51, s49
	s_cmp_lg_u32 s25, 0
	s_sub_co_ci_u32 s25, s43, s45
	s_cmp_ge_u32 s25, s39
	s_cselect_b32 s36, -1, 0
	s_cmp_ge_u32 s23, s38
	s_cselect_b32 s23, -1, 0
	s_cmp_eq_u32 s25, s39
	s_cselect_b32 s23, s23, s36
	s_delay_alu instid0(SALU_CYCLE_1) | instskip(SKIP_3) | instid1(SALU_CYCLE_1)
	s_cmp_lg_u32 s23, 0
	s_cselect_b32 s39, s33, s47
	s_cselect_b32 s38, s31, s46
	s_xor_b64 s[34:35], s[40:41], s[34:35]
	s_xor_b64 s[38:39], s[38:39], s[34:35]
	s_delay_alu instid0(SALU_CYCLE_1)
	s_sub_nc_u64 s[34:35], s[38:39], s[34:35]
	s_load_b32 s41, s[0:1], 0x64
	s_cbranch_execnz .LBB1_13
.LBB1_12:
	v_cvt_f32_u32_e32 v1, s4
	s_sub_co_i32 s25, 0, s4
	s_mov_b32 s35, 0
	s_delay_alu instid0(VALU_DEP_1) | instskip(SKIP_1) | instid1(TRANS32_DEP_1)
	v_rcp_iflag_f32_e32 v1, v1
	v_nop
	v_mul_f32_e32 v1, 0x4f7ffffe, v1
	s_delay_alu instid0(VALU_DEP_1) | instskip(NEXT) | instid1(VALU_DEP_1)
	v_cvt_u32_f32_e32 v1, v1
	v_readfirstlane_b32 s23, v1
	s_mul_i32 s25, s25, s23
	s_delay_alu instid0(SALU_CYCLE_1) | instskip(NEXT) | instid1(SALU_CYCLE_1)
	s_mul_hi_u32 s25, s23, s25
	s_add_co_i32 s23, s23, s25
	s_delay_alu instid0(SALU_CYCLE_1) | instskip(NEXT) | instid1(SALU_CYCLE_1)
	s_mul_hi_u32 s23, s22, s23
	s_mul_i32 s25, s23, s4
	s_delay_alu instid0(SALU_CYCLE_1)
	s_sub_co_i32 s22, s22, s25
	s_add_co_i32 s25, s23, 1
	s_sub_co_i32 s31, s22, s4
	s_cmp_ge_u32 s22, s4
	s_cselect_b32 s23, s25, s23
	s_cselect_b32 s22, s31, s22
	s_add_co_i32 s25, s23, 1
	s_cmp_ge_u32 s22, s4
	s_cselect_b32 s34, s25, s23
.LBB1_13:
	s_mul_i32 s15, s15, s24
	s_ashr_i32 s23, s20, 31
	s_mov_b32 s22, s20
	s_ashr_i32 s25, s21, 31
	s_mov_b32 s24, s21
	s_add_co_i32 s33, s26, s15
	s_mul_u64 s[36:37], s[24:25], s[22:23]
	s_sub_co_i32 s15, s30, s33
	s_mul_u64 s[2:3], s[36:37], s[2:3]
	s_add_co_i32 s36, s15, 1
	s_lshl_b64 s[2:3], s[2:3], 2
	s_and_b32 s37, s27, 0xffff
	s_ashr_i32 s27, s13, 31
	s_ashr_i32 s15, s14, 31
	s_cmp_gt_i32 s36, 0
	v_cvt_f32_u32_e32 v1, s22
	s_cselect_b32 s38, -1, 0
	s_ashr_i32 s39, s20, 31
	s_load_b128 s[44:47], s[0:1], 0x0
	s_add_co_i32 s26, s20, s39
	v_rcp_iflag_f32_e32 v1, v1
	s_xor_b32 s40, s26, s39
	s_sub_co_i32 s26, 0, s20
	v_cvt_f32_u32_e32 v3, s40
	s_sub_co_i32 s30, 0, s40
	v_and_b32_e32 v14, 0x3ff, v0
	s_wait_xcnt 0x0
	s_mul_u64 s[0:1], s[34:35], s[4:5]
	v_mul_f32_e32 v1, 0x4f7ffffe, v1
	v_rcp_iflag_f32_e32 v3, v3
	s_sub_nc_u64 s[0:1], s[28:29], s[0:1]
	s_bfe_i64 s[28:29], s[34:35], 0x200000
	s_mul_u64 s[8:9], s[0:1], s[8:9]
	v_cvt_u32_f32_e32 v4, v1
	s_mul_u64 s[6:7], s[28:29], s[6:7]
	v_cmp_gt_i32_e64 s0, s21, v14
	v_mul_f32_e32 v3, 0x4f7ffffe, v3
	s_lshl_b64 s[28:29], s[6:7], 2
	v_mul_lo_u32 v5, s26, v4
	s_lshl_b64 s[8:9], s[8:9], 2
	s_wait_kmcnt 0x0
	s_add_nc_u64 s[6:7], s[46:47], s[2:3]
	v_cvt_u32_f32_e32 v3, v3
	s_add_nc_u64 s[2:3], s[44:45], s[28:29]
	s_mul_i32 s41, s41, s12
	s_mov_b32 s26, s13
	s_mov_b32 s4, 0
	v_mul_lo_u32 v6, s30, v3
	s_mov_b64 s[12:13], 0xffffffff
	s_add_nc_u64 s[8:9], s[2:3], s[8:9]
	v_mul_hi_u32 v0, v4, v5
	s_ashr_i32 s28, s23, 31
	s_mov_b32 s42, 0
	s_delay_alu instid0(VALU_DEP_2) | instskip(NEXT) | instid1(VALU_DEP_2)
	v_mul_hi_u32 v5, v3, v6
	v_dual_mov_b32 v1, 0 :: v_dual_add_nc_u32 v16, v4, v0
	s_delay_alu instid0(VALU_DEP_2)
	v_add_nc_u32_e32 v15, v3, v5
	s_branch .LBB1_15
.LBB1_14:                               ;   in Loop: Header=BB1_15 Depth=1
	s_or_b32 exec_lo, exec_lo, s3
	v_add_nc_u32_e32 v2, s41, v2
	s_delay_alu instid0(VALU_DEP_1) | instskip(SKIP_1) | instid1(SALU_CYCLE_1)
	v_cmp_le_i32_e32 vcc_lo, s20, v2
	s_or_b32 s42, vcc_lo, s42
	s_and_not1_b32 exec_lo, exec_lo, s42
	s_cbranch_execz .LBB1_54
.LBB1_15:                               ; =>This Loop Header: Depth=1
                                        ;     Child Loop BB1_31 Depth 2
                                        ;       Child Loop BB1_47 Depth 3
                                        ;         Child Loop BB1_50 Depth 4
                                        ;           Child Loop BB1_52 Depth 5
	s_delay_alu instid0(VALU_DEP_2) | instskip(NEXT) | instid1(VALU_DEP_1)
	v_dual_mov_b32 v4, v1 :: v_dual_ashrrev_i32 v3, 31, v2
	v_or_b32_e32 v5, s23, v3
	s_delay_alu instid0(VALU_DEP_1) | instskip(SKIP_1) | instid1(SALU_CYCLE_1)
	v_cmp_ne_u64_e32 vcc_lo, 0, v[4:5]
                                        ; implicit-def: $vgpr4_vgpr5
	s_and_saveexec_b32 s1, vcc_lo
	s_xor_b32 s1, exec_lo, s1
	s_cbranch_execz .LBB1_17
; %bb.16:                               ;   in Loop: Header=BB1_15 Depth=1
	v_ashrrev_i32_e32 v0, 31, v2
	s_delay_alu instid0(VALU_DEP_1) | instskip(NEXT) | instid1(VALU_DEP_1)
	v_add_nc_u32_e32 v4, v2, v0
	v_xor_b32_e32 v4, v4, v0
	s_delay_alu instid0(VALU_DEP_1) | instskip(NEXT) | instid1(VALU_DEP_1)
	v_mul_hi_u32 v5, v4, v15
	v_mul_lo_u32 v6, v5, s40
	s_delay_alu instid0(VALU_DEP_1) | instskip(SKIP_1) | instid1(VALU_DEP_2)
	v_dual_sub_nc_u32 v4, v4, v6 :: v_dual_add_nc_u32 v6, 1, v5
	v_xor_b32_e32 v0, s39, v0
	v_subrev_nc_u32_e32 v7, s40, v4
	v_cmp_le_u32_e32 vcc_lo, s40, v4
	s_delay_alu instid0(VALU_DEP_2) | instskip(NEXT) | instid1(VALU_DEP_1)
	v_dual_cndmask_b32 v4, v4, v7 :: v_dual_cndmask_b32 v5, v5, v6
	v_cmp_le_u32_e32 vcc_lo, s40, v4
	s_delay_alu instid0(VALU_DEP_2) | instskip(NEXT) | instid1(VALU_DEP_1)
	v_add_nc_u32_e32 v6, 1, v5
	v_cndmask_b32_e32 v4, v5, v6, vcc_lo
	s_delay_alu instid0(VALU_DEP_1) | instskip(NEXT) | instid1(VALU_DEP_1)
	v_xor_b32_e32 v4, v4, v0
	v_sub_nc_u32_e32 v4, v4, v0
	s_delay_alu instid0(VALU_DEP_1)
	v_ashrrev_i32_e32 v5, 31, v4
.LBB1_17:                               ;   in Loop: Header=BB1_15 Depth=1
	s_and_not1_saveexec_b32 s1, s1
	s_cbranch_execz .LBB1_19
; %bb.18:                               ;   in Loop: Header=BB1_15 Depth=1
	v_mul_hi_u32 v0, v2, v16
	s_delay_alu instid0(VALU_DEP_1) | instskip(SKIP_1) | instid1(VALU_DEP_2)
	v_mul_lo_u32 v4, v0, s22
	v_add_nc_u32_e32 v5, 1, v0
	v_sub_nc_u32_e32 v4, v2, v4
	s_delay_alu instid0(VALU_DEP_1) | instskip(NEXT) | instid1(VALU_DEP_3)
	v_cmp_le_u32_e32 vcc_lo, s22, v4
	v_cndmask_b32_e32 v0, v0, v5, vcc_lo
	v_subrev_nc_u32_e32 v6, s22, v4
	s_delay_alu instid0(VALU_DEP_1) | instskip(NEXT) | instid1(VALU_DEP_1)
	v_dual_cndmask_b32 v4, v4, v6 :: v_dual_add_nc_u32 v5, 1, v0
	v_cmp_le_u32_e32 vcc_lo, s22, v4
	s_delay_alu instid0(VALU_DEP_2) | instskip(NEXT) | instid1(VALU_DEP_1)
	v_cndmask_b32_e32 v0, v0, v5, vcc_lo
	v_mov_b64_e32 v[4:5], v[0:1]
.LBB1_19:                               ;   in Loop: Header=BB1_15 Depth=1
	s_or_b32 exec_lo, exec_lo, s1
	s_delay_alu instid0(VALU_DEP_1) | instskip(NEXT) | instid1(VALU_DEP_1)
	v_mul_u64_e32 v[6:7], s[22:23], v[4:5]
	v_sub_nc_u64_e32 v[6:7], v[2:3], v[6:7]
	s_delay_alu instid0(VALU_DEP_1) | instskip(NEXT) | instid1(VALU_DEP_1)
	v_mul_u64_e32 v[8:9], s[26:27], v[6:7]
	v_dual_mov_b32 v6, v1 :: v_dual_bitop2_b32 v7, s23, v9 bitop3:0x54
	s_delay_alu instid0(VALU_DEP_1) | instskip(SKIP_1) | instid1(SALU_CYCLE_1)
	v_cmp_ne_u64_e32 vcc_lo, 0, v[6:7]
                                        ; implicit-def: $vgpr6_vgpr7
	s_and_saveexec_b32 s1, vcc_lo
	s_xor_b32 s5, exec_lo, s1
	s_cbranch_execz .LBB1_21
; %bb.20:                               ;   in Loop: Header=BB1_15 Depth=1
	s_mov_b32 s29, s28
	s_mov_b32 s45, s4
	s_add_nc_u64 s[2:3], s[22:23], s[28:29]
	s_mov_b32 s49, s4
	s_xor_b64 s[2:3], s[2:3], s[28:29]
	v_dual_mov_b32 v13, v1 :: v_dual_ashrrev_i32 v6, 31, v9
	s_cvt_f32_u32 s1, s2
	s_cvt_f32_u32 s29, s3
	s_sub_nc_u64 s[34:35], 0, s[2:3]
	s_delay_alu instid0(VALU_DEP_1) | instskip(NEXT) | instid1(SALU_CYCLE_1)
	v_mov_b32_e32 v7, v6
	s_fmamk_f32 s1, s29, 0x4f800000, s1
	s_delay_alu instid0(VALU_DEP_1) | instskip(NEXT) | instid1(SALU_CYCLE_2)
	v_add_nc_u64_e32 v[8:9], v[8:9], v[6:7]
	v_s_rcp_f32 s1, s1
	s_delay_alu instid0(VALU_DEP_1) | instskip(NEXT) | instid1(VALU_DEP_2)
	v_xor_b32_e32 v0, v8, v6
	v_xor_b32_e32 v12, v9, v6
	s_delay_alu instid0(TRANS32_DEP_1) | instskip(SKIP_1) | instid1(SALU_CYCLE_2)
	s_mul_f32 s1, s1, 0x5f7ffffc
	v_mov_b32_e32 v21, v1
	s_mul_f32 s29, s1, 0x2f800000
	s_delay_alu instid0(SALU_CYCLE_3) | instskip(NEXT) | instid1(SALU_CYCLE_3)
	s_trunc_f32 s29, s29
	s_fmamk_f32 s1, s29, 0xcf800000, s1
	s_cvt_u32_f32 s31, s29
	s_delay_alu instid0(SALU_CYCLE_2) | instskip(NEXT) | instid1(SALU_CYCLE_3)
	s_cvt_u32_f32 s30, s1
	s_mul_u64 s[46:47], s[34:35], s[30:31]
	s_delay_alu instid0(SALU_CYCLE_1)
	s_mul_hi_u32 s51, s30, s47
	s_mul_i32 s50, s30, s47
	s_mul_hi_u32 s44, s30, s46
	s_mul_i32 s29, s31, s46
	s_add_nc_u64 s[44:45], s[44:45], s[50:51]
	s_mul_hi_u32 s1, s31, s46
	s_mul_hi_u32 s43, s31, s47
	s_add_co_u32 s29, s44, s29
	s_add_co_ci_u32 s48, s45, s1
	s_mul_i32 s46, s31, s47
	s_add_co_ci_u32 s47, s43, 0
	s_delay_alu instid0(SALU_CYCLE_1) | instskip(SKIP_3) | instid1(SALU_CYCLE_1)
	s_add_nc_u64 s[44:45], s[48:49], s[46:47]
	s_mov_b32 s47, s4
	s_add_co_u32 s30, s30, s44
	s_cselect_b32 s1, -1, 0
	s_cmp_lg_u32 s1, 0
	s_add_co_ci_u32 s31, s31, s45
	s_mov_b32 s45, s4
	s_mul_u64 s[34:35], s[34:35], s[30:31]
	s_delay_alu instid0(SALU_CYCLE_1)
	s_mul_hi_u32 s49, s30, s35
	s_mul_i32 s48, s30, s35
	s_mul_hi_u32 s46, s30, s34
	s_mul_i32 s29, s31, s34
	s_add_nc_u64 s[46:47], s[46:47], s[48:49]
	s_mul_hi_u32 s1, s31, s34
	s_mul_hi_u32 s43, s31, s35
	s_add_co_u32 s29, s46, s29
	s_add_co_ci_u32 s44, s47, s1
	s_mul_i32 s34, s31, s35
	s_add_co_ci_u32 s35, s43, 0
	s_delay_alu instid0(SALU_CYCLE_1) | instskip(NEXT) | instid1(SALU_CYCLE_1)
	s_add_nc_u64 s[34:35], s[44:45], s[34:35]
	s_add_co_u32 s30, s30, s34
	s_cselect_b32 s1, -1, 0
	v_mul_hi_u32 v20, v0, s30
	s_cmp_lg_u32 s1, 0
	s_add_co_ci_u32 s44, s31, s35
	s_and_b64 s[34:35], s[30:31], s[12:13]
	v_mul_u64_e32 v[10:11], s[44:45], v[0:1]
	v_mul_u64_e32 v[8:9], s[34:35], v[12:13]
	;; [unrolled: 1-line block ×3, first 2 shown]
	s_delay_alu instid0(VALU_DEP_3) | instskip(NEXT) | instid1(VALU_DEP_1)
	v_add_nc_u64_e32 v[10:11], v[20:21], v[10:11]
	v_add_co_u32 v5, vcc_lo, v10, v8
	s_delay_alu instid0(VALU_DEP_2) | instskip(NEXT) | instid1(VALU_DEP_4)
	v_add_co_ci_u32_e32 v20, vcc_lo, v11, v9, vcc_lo
	v_add_co_ci_u32_e32 v19, vcc_lo, 0, v19, vcc_lo
	s_delay_alu instid0(VALU_DEP_1) | instskip(NEXT) | instid1(VALU_DEP_1)
	v_add_nc_u64_e32 v[8:9], v[20:21], v[18:19]
	v_mul_u64_e32 v[10:11], s[2:3], v[8:9]
	s_delay_alu instid0(VALU_DEP_1) | instskip(NEXT) | instid1(VALU_DEP_2)
	v_sub_nc_u32_e32 v5, v12, v11
	v_sub_co_u32 v0, vcc_lo, v0, v10
	s_delay_alu instid0(VALU_DEP_1) | instskip(NEXT) | instid1(VALU_DEP_3)
	v_sub_co_ci_u32_e64 v17, null, v12, v11, vcc_lo
	v_subrev_co_ci_u32_e64 v5, null, s3, v5, vcc_lo
	s_delay_alu instid0(VALU_DEP_3) | instskip(SKIP_1) | instid1(VALU_DEP_3)
	v_sub_co_u32 v7, s1, v0, s2
	v_add_nc_u64_e32 v[12:13], 1, v[8:9]
	v_subrev_co_ci_u32_e64 v5, null, 0, v5, s1
	s_delay_alu instid0(VALU_DEP_3) | instskip(SKIP_1) | instid1(VALU_DEP_3)
	v_cmp_le_u32_e32 vcc_lo, s2, v7
	v_cndmask_b32_e64 v7, 0, -1, vcc_lo
	v_cmp_le_u32_e32 vcc_lo, s3, v5
	v_cndmask_b32_e64 v10, 0, -1, vcc_lo
	;; [unrolled: 2-line block ×4, first 2 shown]
	v_cmp_eq_u32_e32 vcc_lo, s3, v5
	v_cndmask_b32_e32 v5, v10, v7, vcc_lo
	v_cmp_eq_u32_e32 vcc_lo, s3, v17
	v_add_nc_u64_e32 v[10:11], 2, v[8:9]
	v_cndmask_b32_e32 v0, v18, v0, vcc_lo
	s_delay_alu instid0(VALU_DEP_4) | instskip(NEXT) | instid1(VALU_DEP_3)
	v_cmp_ne_u32_e32 vcc_lo, 0, v5
	v_cndmask_b32_e32 v5, v13, v11, vcc_lo
	s_delay_alu instid0(VALU_DEP_3) | instskip(NEXT) | instid1(VALU_DEP_1)
	v_cmp_ne_u32_e64 s1, 0, v0
	v_dual_cndmask_b32 v0, v12, v10, vcc_lo :: v_dual_cndmask_b32 v5, v9, v5, s1
	s_delay_alu instid0(VALU_DEP_1) | instskip(NEXT) | instid1(VALU_DEP_1)
	v_dual_cndmask_b32 v0, v8, v0, s1 :: v_dual_bitop2_b32 v6, s28, v6 bitop3:0x14
	v_dual_mov_b32 v7, v6 :: v_dual_bitop2_b32 v9, v5, v6 bitop3:0x14
	s_delay_alu instid0(VALU_DEP_2) | instskip(NEXT) | instid1(VALU_DEP_1)
	v_xor_b32_e32 v8, v0, v6
	v_sub_nc_u64_e32 v[6:7], v[8:9], v[6:7]
                                        ; implicit-def: $vgpr8_vgpr9
.LBB1_21:                               ;   in Loop: Header=BB1_15 Depth=1
	s_and_not1_saveexec_b32 s1, s5
	s_cbranch_execz .LBB1_23
; %bb.22:                               ;   in Loop: Header=BB1_15 Depth=1
	s_delay_alu instid0(VALU_DEP_3) | instskip(NEXT) | instid1(VALU_DEP_1)
	v_mul_hi_u32 v0, v8, v16
	v_mul_lo_u32 v5, v0, s22
	s_delay_alu instid0(VALU_DEP_1) | instskip(NEXT) | instid1(VALU_DEP_1)
	v_dual_add_nc_u32 v6, 1, v0 :: v_dual_sub_nc_u32 v5, v8, v5
	v_subrev_nc_u32_e32 v7, s22, v5
	v_cmp_le_u32_e32 vcc_lo, s22, v5
	s_delay_alu instid0(VALU_DEP_2) | instskip(NEXT) | instid1(VALU_DEP_1)
	v_dual_cndmask_b32 v5, v5, v7 :: v_dual_cndmask_b32 v0, v0, v6
	v_cmp_le_u32_e32 vcc_lo, s22, v5
	s_delay_alu instid0(VALU_DEP_2) | instskip(NEXT) | instid1(VALU_DEP_1)
	v_add_nc_u32_e32 v6, 1, v0
	v_cndmask_b32_e32 v6, v0, v6, vcc_lo
.LBB1_23:                               ;   in Loop: Header=BB1_15 Depth=1
	s_or_b32 exec_lo, exec_lo, s1
	v_add_nc_u64_e32 v[10:11], 1, v[2:3]
	s_delay_alu instid0(VALU_DEP_1) | instskip(NEXT) | instid1(VALU_DEP_1)
	v_mad_nc_u64_u32 v[8:9], v10, s26, -1
	v_mad_u32 v0, v11, s26, v9
	s_delay_alu instid0(VALU_DEP_1) | instskip(NEXT) | instid1(VALU_DEP_1)
	v_mad_u32 v9, v10, s27, v0
	v_dual_mov_b32 v10, v1 :: v_dual_bitop2_b32 v11, s23, v9 bitop3:0x54
	s_delay_alu instid0(VALU_DEP_1) | instskip(SKIP_1) | instid1(SALU_CYCLE_1)
	v_cmp_ne_u64_e32 vcc_lo, 0, v[10:11]
                                        ; implicit-def: $vgpr10_vgpr11
	s_and_saveexec_b32 s1, vcc_lo
	s_xor_b32 s5, exec_lo, s1
	s_cbranch_execnz .LBB1_26
; %bb.24:                               ;   in Loop: Header=BB1_15 Depth=1
	s_and_not1_saveexec_b32 s1, s5
	s_cbranch_execnz .LBB1_27
.LBB1_25:                               ;   in Loop: Header=BB1_15 Depth=1
	s_or_b32 exec_lo, exec_lo, s1
	s_and_saveexec_b32 s3, s0
	s_cbranch_execz .LBB1_14
	s_branch .LBB1_28
.LBB1_26:                               ;   in Loop: Header=BB1_15 Depth=1
	s_mov_b32 s29, s28
	s_mov_b32 s45, s4
	s_add_nc_u64 s[2:3], s[22:23], s[28:29]
	s_mov_b32 s49, s4
	s_xor_b64 s[2:3], s[2:3], s[28:29]
	v_dual_mov_b32 v19, v1 :: v_dual_ashrrev_i32 v10, 31, v9
	s_cvt_f32_u32 s1, s2
	s_cvt_f32_u32 s29, s3
	s_sub_nc_u64 s[34:35], 0, s[2:3]
	s_delay_alu instid0(VALU_DEP_1) | instskip(NEXT) | instid1(SALU_CYCLE_1)
	v_mov_b32_e32 v11, v10
	s_fmamk_f32 s1, s29, 0x4f800000, s1
	s_delay_alu instid0(VALU_DEP_1) | instskip(NEXT) | instid1(SALU_CYCLE_2)
	v_add_nc_u64_e32 v[8:9], v[8:9], v[10:11]
	v_s_rcp_f32 s1, s1
	s_delay_alu instid0(VALU_DEP_1) | instskip(NEXT) | instid1(VALU_DEP_2)
	v_xor_b32_e32 v0, v8, v10
	v_xor_b32_e32 v18, v9, v10
	s_delay_alu instid0(TRANS32_DEP_1) | instskip(SKIP_1) | instid1(SALU_CYCLE_2)
	s_mul_f32 s1, s1, 0x5f7ffffc
	v_dual_mov_b32 v23, v1 :: v_dual_bitop2_b32 v10, s28, v10 bitop3:0x14
	s_mul_f32 s29, s1, 0x2f800000
	s_delay_alu instid0(SALU_CYCLE_3) | instskip(NEXT) | instid1(SALU_CYCLE_3)
	s_trunc_f32 s29, s29
	s_fmamk_f32 s1, s29, 0xcf800000, s1
	s_cvt_u32_f32 s31, s29
	s_delay_alu instid0(SALU_CYCLE_2) | instskip(NEXT) | instid1(SALU_CYCLE_3)
	s_cvt_u32_f32 s30, s1
	s_mul_u64 s[46:47], s[34:35], s[30:31]
	s_delay_alu instid0(SALU_CYCLE_1)
	s_mul_hi_u32 s51, s30, s47
	s_mul_i32 s50, s30, s47
	s_mul_hi_u32 s44, s30, s46
	s_mul_i32 s29, s31, s46
	s_add_nc_u64 s[44:45], s[44:45], s[50:51]
	s_mul_hi_u32 s1, s31, s46
	s_mul_hi_u32 s43, s31, s47
	s_add_co_u32 s29, s44, s29
	s_add_co_ci_u32 s48, s45, s1
	s_mul_i32 s46, s31, s47
	s_add_co_ci_u32 s47, s43, 0
	s_delay_alu instid0(SALU_CYCLE_1) | instskip(SKIP_3) | instid1(SALU_CYCLE_1)
	s_add_nc_u64 s[44:45], s[48:49], s[46:47]
	s_mov_b32 s47, s4
	s_add_co_u32 s30, s30, s44
	s_cselect_b32 s1, -1, 0
	s_cmp_lg_u32 s1, 0
	s_add_co_ci_u32 s31, s31, s45
	s_mov_b32 s45, s4
	s_mul_u64 s[34:35], s[34:35], s[30:31]
	s_delay_alu instid0(SALU_CYCLE_1)
	s_mul_hi_u32 s49, s30, s35
	s_mul_i32 s48, s30, s35
	s_mul_hi_u32 s46, s30, s34
	s_mul_i32 s29, s31, s34
	s_add_nc_u64 s[46:47], s[46:47], s[48:49]
	s_mul_hi_u32 s1, s31, s34
	s_mul_hi_u32 s43, s31, s35
	s_add_co_u32 s29, s46, s29
	s_add_co_ci_u32 s44, s47, s1
	s_mul_i32 s34, s31, s35
	s_add_co_ci_u32 s35, s43, 0
	s_delay_alu instid0(SALU_CYCLE_1) | instskip(NEXT) | instid1(SALU_CYCLE_1)
	s_add_nc_u64 s[34:35], s[44:45], s[34:35]
	s_add_co_u32 s30, s30, s34
	s_cselect_b32 s1, -1, 0
	v_mul_hi_u32 v22, v0, s30
	s_cmp_lg_u32 s1, 0
	s_add_co_ci_u32 s44, s31, s35
	s_and_b64 s[34:35], s[30:31], s[12:13]
	v_mul_u64_e32 v[12:13], s[44:45], v[0:1]
	v_mul_u64_e32 v[8:9], s[34:35], v[18:19]
	;; [unrolled: 1-line block ×3, first 2 shown]
	s_delay_alu instid0(VALU_DEP_3) | instskip(NEXT) | instid1(VALU_DEP_1)
	v_add_nc_u64_e32 v[12:13], v[22:23], v[12:13]
	v_add_co_u32 v3, vcc_lo, v12, v8
	s_delay_alu instid0(VALU_DEP_2) | instskip(NEXT) | instid1(VALU_DEP_4)
	v_add_co_ci_u32_e32 v22, vcc_lo, v13, v9, vcc_lo
	v_add_co_ci_u32_e32 v21, vcc_lo, 0, v21, vcc_lo
	s_delay_alu instid0(VALU_DEP_1) | instskip(NEXT) | instid1(VALU_DEP_1)
	v_add_nc_u64_e32 v[8:9], v[22:23], v[20:21]
	v_mul_u64_e32 v[12:13], s[2:3], v[8:9]
	s_delay_alu instid0(VALU_DEP_1) | instskip(NEXT) | instid1(VALU_DEP_2)
	v_sub_nc_u32_e32 v3, v18, v13
	v_sub_co_u32 v0, vcc_lo, v0, v12
	s_delay_alu instid0(VALU_DEP_1) | instskip(NEXT) | instid1(VALU_DEP_3)
	v_sub_co_ci_u32_e64 v7, null, v18, v13, vcc_lo
	v_subrev_co_ci_u32_e64 v3, null, s3, v3, vcc_lo
	s_delay_alu instid0(VALU_DEP_3) | instskip(SKIP_1) | instid1(VALU_DEP_3)
	v_sub_co_u32 v5, s1, v0, s2
	v_add_nc_u64_e32 v[12:13], 2, v[8:9]
	v_subrev_co_ci_u32_e64 v3, null, 0, v3, s1
	s_delay_alu instid0(VALU_DEP_3) | instskip(SKIP_2) | instid1(VALU_DEP_4)
	v_cmp_le_u32_e32 vcc_lo, s2, v5
	v_add_nc_u64_e32 v[18:19], 1, v[8:9]
	v_cndmask_b32_e64 v5, 0, -1, vcc_lo
	v_cmp_le_u32_e32 vcc_lo, s3, v3
	v_cndmask_b32_e64 v11, 0, -1, vcc_lo
	v_cmp_le_u32_e32 vcc_lo, s2, v0
	;; [unrolled: 2-line block ×3, first 2 shown]
	v_cndmask_b32_e64 v17, 0, -1, vcc_lo
	v_cmp_eq_u32_e32 vcc_lo, s3, v3
	v_cndmask_b32_e32 v3, v11, v5, vcc_lo
	v_cmp_eq_u32_e32 vcc_lo, s3, v7
	s_delay_alu instid0(VALU_DEP_4) | instskip(NEXT) | instid1(VALU_DEP_3)
	v_cndmask_b32_e32 v0, v17, v0, vcc_lo
	v_cmp_ne_u32_e32 vcc_lo, 0, v3
	v_cndmask_b32_e32 v3, v19, v13, vcc_lo
	s_delay_alu instid0(VALU_DEP_3) | instskip(NEXT) | instid1(VALU_DEP_1)
	v_cmp_ne_u32_e64 s1, 0, v0
	v_dual_cndmask_b32 v0, v18, v12, vcc_lo :: v_dual_cndmask_b32 v3, v9, v3, s1
	s_delay_alu instid0(VALU_DEP_1) | instskip(NEXT) | instid1(VALU_DEP_2)
	v_dual_cndmask_b32 v0, v8, v0, s1 :: v_dual_mov_b32 v11, v10
	v_xor_b32_e32 v9, v3, v10
	s_delay_alu instid0(VALU_DEP_2) | instskip(NEXT) | instid1(VALU_DEP_1)
	v_xor_b32_e32 v8, v0, v10
	v_sub_nc_u64_e32 v[10:11], v[8:9], v[10:11]
                                        ; implicit-def: $vgpr8_vgpr9
	s_and_not1_saveexec_b32 s1, s5
	s_cbranch_execz .LBB1_25
.LBB1_27:                               ;   in Loop: Header=BB1_15 Depth=1
	v_mul_hi_u32 v0, v8, v16
	s_delay_alu instid0(VALU_DEP_1) | instskip(NEXT) | instid1(VALU_DEP_1)
	v_mul_lo_u32 v3, v0, s22
	v_dual_add_nc_u32 v5, 1, v0 :: v_dual_sub_nc_u32 v3, v8, v3
	s_delay_alu instid0(VALU_DEP_1) | instskip(SKIP_1) | instid1(VALU_DEP_2)
	v_subrev_nc_u32_e32 v7, s22, v3
	v_cmp_le_u32_e32 vcc_lo, s22, v3
	v_dual_cndmask_b32 v3, v3, v7 :: v_dual_cndmask_b32 v0, v0, v5
	s_delay_alu instid0(VALU_DEP_1) | instskip(NEXT) | instid1(VALU_DEP_2)
	v_cmp_le_u32_e32 vcc_lo, s22, v3
	v_add_nc_u32_e32 v5, 1, v0
	s_delay_alu instid0(VALU_DEP_1)
	v_cndmask_b32_e32 v10, v0, v5, vcc_lo
	s_or_b32 exec_lo, exec_lo, s1
	s_and_saveexec_b32 s3, s0
	s_cbranch_execz .LBB1_14
.LBB1_28:                               ;   in Loop: Header=BB1_15 Depth=1
	v_mad_u32 v3, v4, s26, v6
	v_mul_lo_u32 v4, v2, s21
	s_mov_b32 s29, 0
	s_delay_alu instid0(VALU_DEP_1) | instskip(NEXT) | instid1(VALU_DEP_1)
	v_dual_sub_nc_u32 v0, v10, v3 :: v_dual_ashrrev_i32 v5, 31, v4
	v_dual_mov_b32 v0, v14 :: v_dual_add_nc_u32 v17, 1, v0
	s_delay_alu instid0(VALU_DEP_2) | instskip(NEXT) | instid1(VALU_DEP_2)
	v_lshl_add_u64 v[4:5], v[4:5], 2, s[6:7]
	v_mul_lo_u32 v18, v17, s36
	v_cmp_lt_i32_e64 s1, 0, v17
	s_branch .LBB1_31
.LBB1_29:                               ;   in Loop: Header=BB1_31 Depth=2
	v_mov_b32_e32 v8, 0
.LBB1_30:                               ;   in Loop: Header=BB1_31 Depth=2
	s_delay_alu instid0(VALU_DEP_2) | instskip(NEXT) | instid1(VALU_DEP_1)
	v_mul_lo_u32 v6, v18, v9
	v_cvt_f32_i32_e32 v9, v6
	s_delay_alu instid0(VALU_DEP_1) | instskip(NEXT) | instid1(VALU_DEP_1)
	v_div_scale_f32 v6, null, v9, v9, v8
	v_rcp_f32_e32 v10, v6
	v_nop
	s_delay_alu instid0(TRANS32_DEP_1) | instskip(NEXT) | instid1(VALU_DEP_1)
	v_fma_f32 v7, -v6, v10, 1.0
	v_fmac_f32_e32 v10, v7, v10
	v_div_scale_f32 v7, vcc_lo, v8, v9, v8
	s_delay_alu instid0(VALU_DEP_1) | instskip(NEXT) | instid1(VALU_DEP_1)
	v_mul_f32_e32 v11, v7, v10
	v_fma_f32 v12, -v6, v11, v7
	s_delay_alu instid0(VALU_DEP_1) | instskip(NEXT) | instid1(VALU_DEP_1)
	v_fmac_f32_e32 v11, v12, v10
	v_fma_f32 v12, -v6, v11, v7
	v_lshl_add_u64 v[6:7], v[0:1], 2, v[4:5]
	v_add_nc_u32_e32 v0, s37, v0
	s_delay_alu instid0(VALU_DEP_3) | instskip(NEXT) | instid1(VALU_DEP_2)
	v_div_fmas_f32 v10, v12, v10, v11
	v_cmp_le_i32_e32 vcc_lo, s21, v0
	s_delay_alu instid0(VALU_DEP_2)
	v_div_fixup_f32 v8, v10, v9, v8
	s_or_b32 s29, vcc_lo, s29
	global_store_b32 v[6:7], v8, off
	s_wait_xcnt 0x0
	s_and_not1_b32 exec_lo, exec_lo, s29
	s_cbranch_execz .LBB1_14
.LBB1_31:                               ;   Parent Loop BB1_15 Depth=1
                                        ; =>  This Loop Header: Depth=2
                                        ;       Child Loop BB1_47 Depth 3
                                        ;         Child Loop BB1_50 Depth 4
                                        ;           Child Loop BB1_52 Depth 5
	s_mov_b32 s5, s25
                                        ; implicit-def: $vgpr6_vgpr7
	s_delay_alu instid0(SALU_CYCLE_1) | instskip(SKIP_1) | instid1(SALU_CYCLE_1)
	s_cmp_lg_u64 s[4:5], 0
	s_cselect_b32 s2, -1, 0
	s_and_saveexec_b32 s5, s2
	s_delay_alu instid0(SALU_CYCLE_1)
	s_xor_b32 s5, exec_lo, s5
	s_cbranch_execz .LBB1_33
; %bb.32:                               ;   in Loop: Header=BB1_31 Depth=2
	s_ashr_i32 s30, s25, 31
	s_mov_b32 s49, s4
	s_mov_b32 s31, s30
	;; [unrolled: 1-line block ×3, first 2 shown]
	s_add_nc_u64 s[34:35], s[24:25], s[30:31]
	v_add_nc_u64_e32 v[6:7], 0, v[0:1]
	s_xor_b64 s[34:35], s[34:35], s[30:31]
	v_mov_b32_e32 v9, v1
	s_cvt_f32_u32 s2, s34
	s_cvt_f32_u32 s31, s35
	s_sub_nc_u64 s[46:47], 0, s[34:35]
	s_delay_alu instid0(VALU_DEP_2) | instskip(NEXT) | instid1(SALU_CYCLE_1)
	v_dual_mov_b32 v11, v1 :: v_dual_mov_b32 v10, v7
	s_fmamk_f32 s2, s31, 0x4f800000, s2
	v_dual_mov_b32 v8, v6 :: v_dual_mov_b32 v21, v1
	s_delay_alu instid0(SALU_CYCLE_2) | instskip(NEXT) | instid1(TRANS32_DEP_1)
	v_s_rcp_f32 s2, s2
	s_mul_f32 s2, s2, 0x5f7ffffc
	s_delay_alu instid0(SALU_CYCLE_3) | instskip(NEXT) | instid1(SALU_CYCLE_3)
	s_mul_f32 s31, s2, 0x2f800000
	s_trunc_f32 s31, s31
	s_delay_alu instid0(SALU_CYCLE_3) | instskip(SKIP_1) | instid1(SALU_CYCLE_2)
	s_fmamk_f32 s2, s31, 0xcf800000, s2
	s_cvt_u32_f32 s45, s31
	s_cvt_u32_f32 s44, s2
	s_delay_alu instid0(SALU_CYCLE_3) | instskip(NEXT) | instid1(SALU_CYCLE_1)
	s_mul_u64 s[50:51], s[46:47], s[44:45]
	s_mul_hi_u32 s55, s44, s51
	s_mul_i32 s54, s44, s51
	s_mul_hi_u32 s48, s44, s50
	s_mul_i32 s31, s45, s50
	s_add_nc_u64 s[48:49], s[48:49], s[54:55]
	s_mul_hi_u32 s2, s45, s50
	s_mul_hi_u32 s43, s45, s51
	s_add_co_u32 s31, s48, s31
	s_add_co_ci_u32 s52, s49, s2
	s_mul_i32 s50, s45, s51
	s_add_co_ci_u32 s51, s43, 0
	s_delay_alu instid0(SALU_CYCLE_1) | instskip(SKIP_3) | instid1(SALU_CYCLE_1)
	s_add_nc_u64 s[48:49], s[52:53], s[50:51]
	s_mov_b32 s51, s4
	s_add_co_u32 s44, s44, s48
	s_cselect_b32 s2, -1, 0
	s_cmp_lg_u32 s2, 0
	s_add_co_ci_u32 s45, s45, s49
	s_mov_b32 s49, s4
	s_mul_u64 s[46:47], s[46:47], s[44:45]
	s_delay_alu instid0(SALU_CYCLE_1)
	s_mul_hi_u32 s53, s44, s47
	s_mul_i32 s52, s44, s47
	s_mul_hi_u32 s50, s44, s46
	s_mul_i32 s31, s45, s46
	s_add_nc_u64 s[50:51], s[50:51], s[52:53]
	s_mul_hi_u32 s2, s45, s46
	s_mul_hi_u32 s43, s45, s47
	s_add_co_u32 s31, s50, s31
	s_add_co_ci_u32 s48, s51, s2
	s_mul_i32 s46, s45, s47
	s_add_co_ci_u32 s47, s43, 0
	s_delay_alu instid0(SALU_CYCLE_1) | instskip(NEXT) | instid1(SALU_CYCLE_1)
	s_add_nc_u64 s[46:47], s[48:49], s[46:47]
	s_add_co_u32 s2, s44, s46
	s_cselect_b32 s31, -1, 0
	v_nop
	v_mul_hi_u32 v20, v6, s2
	s_cmp_lg_u32 s31, 0
	s_add_co_ci_u32 s48, s45, s47
	s_and_b64 s[44:45], s[2:3], s[12:13]
	v_mul_u64_e32 v[8:9], s[48:49], v[8:9]
	v_mul_u64_e32 v[12:13], s[44:45], v[10:11]
	;; [unrolled: 1-line block ×3, first 2 shown]
	s_delay_alu instid0(VALU_DEP_3) | instskip(NEXT) | instid1(VALU_DEP_1)
	v_add_nc_u64_e32 v[8:9], v[20:21], v[8:9]
	v_add_co_u32 v8, vcc_lo, v8, v12
	s_delay_alu instid0(VALU_DEP_2) | instskip(NEXT) | instid1(VALU_DEP_4)
	v_add_co_ci_u32_e32 v20, vcc_lo, v9, v13, vcc_lo
	v_add_co_ci_u32_e32 v11, vcc_lo, 0, v11, vcc_lo
	s_delay_alu instid0(VALU_DEP_1) | instskip(NEXT) | instid1(VALU_DEP_1)
	v_add_nc_u64_e32 v[8:9], v[20:21], v[10:11]
	v_mul_u64_e32 v[10:11], s[34:35], v[8:9]
	s_delay_alu instid0(VALU_DEP_1) | instskip(NEXT) | instid1(VALU_DEP_2)
	v_sub_nc_u32_e32 v12, v7, v11
	v_sub_co_u32 v6, vcc_lo, v6, v10
	s_delay_alu instid0(VALU_DEP_1) | instskip(NEXT) | instid1(VALU_DEP_3)
	v_sub_co_ci_u32_e64 v11, null, v7, v11, vcc_lo
	v_subrev_co_ci_u32_e64 v10, null, s35, v12, vcc_lo
	s_delay_alu instid0(VALU_DEP_3) | instskip(SKIP_1) | instid1(VALU_DEP_3)
	v_sub_co_u32 v19, s2, v6, s34
	v_cmp_le_u32_e32 vcc_lo, s34, v6
	v_subrev_co_ci_u32_e64 v10, null, 0, v10, s2
	s_delay_alu instid0(VALU_DEP_3) | instskip(SKIP_2) | instid1(VALU_DEP_4)
	v_cmp_le_u32_e64 s2, s34, v19
	v_add_nc_u64_e32 v[12:13], 2, v[8:9]
	v_cndmask_b32_e64 v21, 0, -1, vcc_lo
	v_cmp_eq_u32_e32 vcc_lo, s35, v10
	v_add_nc_u64_e32 v[6:7], 1, v[8:9]
	v_cndmask_b32_e64 v19, 0, -1, s2
	v_cmp_le_u32_e64 s2, s35, v10
	s_delay_alu instid0(VALU_DEP_1) | instskip(SKIP_1) | instid1(VALU_DEP_2)
	v_cndmask_b32_e64 v20, 0, -1, s2
	v_cmp_eq_u32_e64 s2, s35, v11
	v_cndmask_b32_e32 v10, v20, v19, vcc_lo
	v_cmp_le_u32_e32 vcc_lo, s35, v11
	v_cndmask_b32_e64 v19, 0, -1, vcc_lo
	s_delay_alu instid0(VALU_DEP_3) | instskip(NEXT) | instid1(VALU_DEP_2)
	v_cmp_ne_u32_e32 vcc_lo, 0, v10
	v_dual_cndmask_b32 v10, v19, v21, s2 :: v_dual_cndmask_b32 v6, v6, v12, vcc_lo
	v_cndmask_b32_e32 v7, v7, v13, vcc_lo
	s_delay_alu instid0(VALU_DEP_2) | instskip(NEXT) | instid1(VALU_DEP_2)
	v_cmp_ne_u32_e32 vcc_lo, 0, v10
	v_dual_cndmask_b32 v9, v9, v7 :: v_dual_cndmask_b32 v8, v8, v6
	v_dual_mov_b32 v7, s30 :: v_dual_mov_b32 v6, s30
	s_delay_alu instid0(VALU_DEP_2) | instskip(NEXT) | instid1(VALU_DEP_3)
	v_xor_b32_e32 v9, s30, v9
	v_xor_b32_e32 v8, s30, v8
	s_delay_alu instid0(VALU_DEP_1)
	v_sub_nc_u64_e32 v[6:7], v[8:9], v[6:7]
.LBB1_33:                               ;   in Loop: Header=BB1_31 Depth=2
	s_and_not1_saveexec_b32 s2, s5
	s_cbranch_execz .LBB1_35
; %bb.34:                               ;   in Loop: Header=BB1_31 Depth=2
	v_cvt_f32_u32_e32 v6, s24
	s_sub_co_i32 s5, 0, s24
	s_delay_alu instid0(VALU_DEP_1) | instskip(SKIP_1) | instid1(TRANS32_DEP_1)
	v_rcp_iflag_f32_e32 v6, v6
	v_nop
	v_mul_f32_e32 v6, 0x4f7ffffe, v6
	s_delay_alu instid0(VALU_DEP_1) | instskip(NEXT) | instid1(VALU_DEP_1)
	v_cvt_u32_f32_e32 v6, v6
	v_mul_lo_u32 v7, s5, v6
	s_delay_alu instid0(VALU_DEP_1) | instskip(NEXT) | instid1(VALU_DEP_1)
	v_mul_hi_u32 v7, v6, v7
	v_add_nc_u32_e32 v6, v6, v7
	s_delay_alu instid0(VALU_DEP_1) | instskip(NEXT) | instid1(VALU_DEP_1)
	v_mul_hi_u32 v6, v0, v6
	v_mul_lo_u32 v7, v6, s24
	s_delay_alu instid0(VALU_DEP_1) | instskip(NEXT) | instid1(VALU_DEP_1)
	v_dual_add_nc_u32 v8, 1, v6 :: v_dual_sub_nc_u32 v7, v0, v7
	v_subrev_nc_u32_e32 v9, s24, v7
	v_cmp_le_u32_e32 vcc_lo, s24, v7
	s_delay_alu instid0(VALU_DEP_2) | instskip(NEXT) | instid1(VALU_DEP_1)
	v_dual_cndmask_b32 v7, v7, v9 :: v_dual_cndmask_b32 v6, v6, v8
	v_cmp_le_u32_e32 vcc_lo, s24, v7
	s_delay_alu instid0(VALU_DEP_2) | instskip(NEXT) | instid1(VALU_DEP_1)
	v_dual_mov_b32 v7, v1 :: v_dual_add_nc_u32 v8, 1, v6
	v_cndmask_b32_e32 v6, v6, v8, vcc_lo
.LBB1_35:                               ;   in Loop: Header=BB1_31 Depth=2
	s_or_b32 exec_lo, exec_lo, s2
	s_delay_alu instid0(VALU_DEP_1) | instskip(NEXT) | instid1(VALU_DEP_1)
	v_mul_u64_e32 v[8:9], s[24:25], v[6:7]
	v_sub_nc_u64_e32 v[8:9], v[0:1], v[8:9]
	s_delay_alu instid0(VALU_DEP_1) | instskip(NEXT) | instid1(VALU_DEP_1)
	v_mul_u64_e32 v[10:11], s[14:15], v[8:9]
	v_dual_mov_b32 v8, v1 :: v_dual_bitop2_b32 v9, s25, v11 bitop3:0x54
	s_delay_alu instid0(VALU_DEP_1) | instskip(SKIP_1) | instid1(SALU_CYCLE_1)
	v_cmp_ne_u64_e32 vcc_lo, 0, v[8:9]
                                        ; implicit-def: $vgpr8_vgpr9
	s_and_saveexec_b32 s2, vcc_lo
	s_xor_b32 s5, exec_lo, s2
	s_cbranch_execz .LBB1_37
; %bb.36:                               ;   in Loop: Header=BB1_31 Depth=2
	s_ashr_i32 s30, s25, 31
	s_mov_b32 s49, s4
	s_mov_b32 s31, s30
	;; [unrolled: 1-line block ×3, first 2 shown]
	s_add_nc_u64 s[34:35], s[24:25], s[30:31]
	v_dual_mov_b32 v13, v1 :: v_dual_ashrrev_i32 v8, 31, v11
	s_xor_b64 s[34:35], s[34:35], s[30:31]
	s_delay_alu instid0(SALU_CYCLE_1) | instskip(SKIP_3) | instid1(SALU_CYCLE_1)
	s_cvt_f32_u32 s2, s34
	s_cvt_f32_u32 s31, s35
	s_sub_nc_u64 s[46:47], 0, s[34:35]
	v_mov_b32_e32 v9, v8
	s_fmamk_f32 s2, s31, 0x4f800000, s2
	s_delay_alu instid0(VALU_DEP_1) | instskip(NEXT) | instid1(SALU_CYCLE_2)
	v_add_nc_u64_e32 v[10:11], v[10:11], v[8:9]
	v_s_rcp_f32 s2, s2
	s_delay_alu instid0(VALU_DEP_1) | instskip(NEXT) | instid1(VALU_DEP_2)
	v_dual_mov_b32 v23, v1 :: v_dual_bitop2_b32 v22, v11, v8 bitop3:0x14
	v_xor_b32_e32 v12, v10, v8
	s_delay_alu instid0(TRANS32_DEP_1) | instskip(SKIP_1) | instid1(SALU_CYCLE_2)
	s_mul_f32 s2, s2, 0x5f7ffffc
	v_mov_b32_e32 v27, v1
	s_mul_f32 s31, s2, 0x2f800000
	s_delay_alu instid0(SALU_CYCLE_3) | instskip(NEXT) | instid1(SALU_CYCLE_3)
	s_trunc_f32 s31, s31
	s_fmamk_f32 s2, s31, 0xcf800000, s2
	s_cvt_u32_f32 s45, s31
	s_delay_alu instid0(SALU_CYCLE_2) | instskip(NEXT) | instid1(SALU_CYCLE_3)
	s_cvt_u32_f32 s44, s2
	s_mul_u64 s[50:51], s[46:47], s[44:45]
	s_delay_alu instid0(SALU_CYCLE_1)
	s_mul_hi_u32 s55, s44, s51
	s_mul_i32 s54, s44, s51
	s_mul_hi_u32 s48, s44, s50
	s_mul_i32 s31, s45, s50
	s_add_nc_u64 s[48:49], s[48:49], s[54:55]
	s_mul_hi_u32 s2, s45, s50
	s_mul_hi_u32 s43, s45, s51
	s_add_co_u32 s31, s48, s31
	s_add_co_ci_u32 s52, s49, s2
	s_mul_i32 s50, s45, s51
	s_add_co_ci_u32 s51, s43, 0
	s_delay_alu instid0(SALU_CYCLE_1) | instskip(SKIP_3) | instid1(SALU_CYCLE_1)
	s_add_nc_u64 s[48:49], s[52:53], s[50:51]
	s_mov_b32 s51, s4
	s_add_co_u32 s44, s44, s48
	s_cselect_b32 s2, -1, 0
	s_cmp_lg_u32 s2, 0
	s_add_co_ci_u32 s45, s45, s49
	s_mov_b32 s49, s4
	s_mul_u64 s[46:47], s[46:47], s[44:45]
	s_delay_alu instid0(SALU_CYCLE_1)
	s_mul_hi_u32 s53, s44, s47
	s_mul_i32 s52, s44, s47
	s_mul_hi_u32 s50, s44, s46
	s_mul_i32 s31, s45, s46
	s_add_nc_u64 s[50:51], s[50:51], s[52:53]
	s_mul_hi_u32 s2, s45, s46
	s_mul_hi_u32 s43, s45, s47
	s_add_co_u32 s31, s50, s31
	s_add_co_ci_u32 s48, s51, s2
	s_mul_i32 s46, s45, s47
	s_add_co_ci_u32 s47, s43, 0
	s_delay_alu instid0(SALU_CYCLE_1) | instskip(NEXT) | instid1(SALU_CYCLE_1)
	s_add_nc_u64 s[46:47], s[48:49], s[46:47]
	s_add_co_u32 s2, s44, s46
	s_cselect_b32 s31, -1, 0
	v_mul_hi_u32 v26, v12, s2
	s_cmp_lg_u32 s31, 0
	s_add_co_ci_u32 s48, s45, s47
	s_and_b64 s[44:45], s[2:3], s[12:13]
	v_mul_u64_e32 v[20:21], s[48:49], v[12:13]
	v_mul_u64_e32 v[10:11], s[44:45], v[22:23]
	;; [unrolled: 1-line block ×3, first 2 shown]
	s_delay_alu instid0(VALU_DEP_3) | instskip(NEXT) | instid1(VALU_DEP_1)
	v_add_nc_u64_e32 v[20:21], v[26:27], v[20:21]
	v_add_co_u32 v7, vcc_lo, v20, v10
	s_delay_alu instid0(VALU_DEP_2) | instskip(NEXT) | instid1(VALU_DEP_4)
	v_add_co_ci_u32_e32 v26, vcc_lo, v21, v11, vcc_lo
	v_add_co_ci_u32_e32 v25, vcc_lo, 0, v25, vcc_lo
	s_delay_alu instid0(VALU_DEP_1) | instskip(NEXT) | instid1(VALU_DEP_1)
	v_add_nc_u64_e32 v[10:11], v[26:27], v[24:25]
	v_mul_u64_e32 v[20:21], s[34:35], v[10:11]
	s_delay_alu instid0(VALU_DEP_1) | instskip(NEXT) | instid1(VALU_DEP_2)
	v_sub_nc_u32_e32 v7, v22, v21
	v_sub_co_u32 v9, vcc_lo, v12, v20
	s_delay_alu instid0(VALU_DEP_1) | instskip(NEXT) | instid1(VALU_DEP_3)
	v_sub_co_ci_u32_e64 v19, null, v22, v21, vcc_lo
	v_subrev_co_ci_u32_e64 v7, null, s35, v7, vcc_lo
	s_delay_alu instid0(VALU_DEP_3) | instskip(SKIP_1) | instid1(VALU_DEP_3)
	v_sub_co_u32 v12, s2, v9, s34
	v_add_nc_u64_e32 v[20:21], 1, v[10:11]
	v_subrev_co_ci_u32_e64 v7, null, 0, v7, s2
	s_delay_alu instid0(VALU_DEP_3) | instskip(SKIP_1) | instid1(VALU_DEP_3)
	v_cmp_le_u32_e32 vcc_lo, s34, v12
	v_cndmask_b32_e64 v12, 0, -1, vcc_lo
	v_cmp_le_u32_e32 vcc_lo, s35, v7
	v_cndmask_b32_e64 v13, 0, -1, vcc_lo
	;; [unrolled: 2-line block ×4, first 2 shown]
	v_cmp_eq_u32_e32 vcc_lo, s35, v7
	v_cndmask_b32_e32 v7, v13, v12, vcc_lo
	v_cmp_eq_u32_e32 vcc_lo, s35, v19
	v_add_nc_u64_e32 v[12:13], 2, v[10:11]
	v_cndmask_b32_e32 v9, v22, v9, vcc_lo
	s_delay_alu instid0(VALU_DEP_4) | instskip(NEXT) | instid1(VALU_DEP_2)
	v_cmp_ne_u32_e32 vcc_lo, 0, v7
	v_cmp_ne_u32_e64 s2, 0, v9
	s_delay_alu instid0(VALU_DEP_4) | instskip(NEXT) | instid1(VALU_DEP_1)
	v_dual_cndmask_b32 v7, v21, v13, vcc_lo :: v_dual_cndmask_b32 v9, v20, v12, vcc_lo
	v_dual_cndmask_b32 v7, v11, v7, s2 :: v_dual_bitop2_b32 v8, s30, v8 bitop3:0x14
	s_delay_alu instid0(VALU_DEP_1) | instskip(NEXT) | instid1(VALU_DEP_2)
	v_dual_cndmask_b32 v10, v10, v9, s2 :: v_dual_mov_b32 v9, v8
	v_xor_b32_e32 v11, v7, v8
	s_delay_alu instid0(VALU_DEP_2) | instskip(NEXT) | instid1(VALU_DEP_1)
	v_xor_b32_e32 v10, v10, v8
	v_sub_nc_u64_e32 v[8:9], v[10:11], v[8:9]
                                        ; implicit-def: $vgpr10_vgpr11
.LBB1_37:                               ;   in Loop: Header=BB1_31 Depth=2
	s_and_not1_saveexec_b32 s2, s5
	s_cbranch_execz .LBB1_39
; %bb.38:                               ;   in Loop: Header=BB1_31 Depth=2
	v_cvt_f32_u32_e32 v7, s24
	s_sub_co_i32 s5, 0, s24
	s_delay_alu instid0(VALU_DEP_1) | instskip(SKIP_1) | instid1(TRANS32_DEP_1)
	v_rcp_iflag_f32_e32 v7, v7
	v_nop
	v_mul_f32_e32 v7, 0x4f7ffffe, v7
	s_delay_alu instid0(VALU_DEP_1) | instskip(NEXT) | instid1(VALU_DEP_1)
	v_cvt_u32_f32_e32 v7, v7
	v_mul_lo_u32 v8, s5, v7
	s_delay_alu instid0(VALU_DEP_1) | instskip(NEXT) | instid1(VALU_DEP_1)
	v_mul_hi_u32 v8, v7, v8
	v_add_nc_u32_e32 v7, v7, v8
	s_delay_alu instid0(VALU_DEP_1) | instskip(NEXT) | instid1(VALU_DEP_1)
	v_mul_hi_u32 v7, v10, v7
	v_mul_lo_u32 v8, v7, s24
	s_delay_alu instid0(VALU_DEP_1) | instskip(NEXT) | instid1(VALU_DEP_1)
	v_dual_add_nc_u32 v9, 1, v7 :: v_dual_sub_nc_u32 v8, v10, v8
	v_subrev_nc_u32_e32 v10, s24, v8
	v_cmp_le_u32_e32 vcc_lo, s24, v8
	s_delay_alu instid0(VALU_DEP_2) | instskip(NEXT) | instid1(VALU_DEP_1)
	v_dual_cndmask_b32 v8, v8, v10 :: v_dual_cndmask_b32 v7, v7, v9
	v_cmp_le_u32_e32 vcc_lo, s24, v8
	s_delay_alu instid0(VALU_DEP_2) | instskip(NEXT) | instid1(VALU_DEP_1)
	v_add_nc_u32_e32 v9, 1, v7
	v_cndmask_b32_e32 v8, v7, v9, vcc_lo
.LBB1_39:                               ;   in Loop: Header=BB1_31 Depth=2
	s_or_b32 exec_lo, exec_lo, s2
	v_dual_mov_b32 v12, v1 :: v_dual_add_nc_u32 v7, 1, v0
	s_delay_alu instid0(VALU_DEP_1) | instskip(NEXT) | instid1(VALU_DEP_1)
	v_mad_nc_u64_u32 v[10:11], v7, s14, -1
	v_mad_u32 v11, v7, s15, v11
	s_delay_alu instid0(VALU_DEP_1) | instskip(NEXT) | instid1(VALU_DEP_1)
	v_or_b32_e32 v13, s25, v11
	v_cmp_ne_u64_e32 vcc_lo, 0, v[12:13]
                                        ; implicit-def: $vgpr12_vgpr13
	s_and_saveexec_b32 s2, vcc_lo
	s_delay_alu instid0(SALU_CYCLE_1)
	s_xor_b32 s5, exec_lo, s2
	s_cbranch_execz .LBB1_41
; %bb.40:                               ;   in Loop: Header=BB1_31 Depth=2
	s_ashr_i32 s30, s25, 31
	s_mov_b32 s49, s4
	s_mov_b32 s31, s30
	;; [unrolled: 1-line block ×3, first 2 shown]
	s_add_nc_u64 s[34:35], s[24:25], s[30:31]
	v_dual_mov_b32 v21, v1 :: v_dual_ashrrev_i32 v12, 31, v11
	s_xor_b64 s[34:35], s[34:35], s[30:31]
	s_delay_alu instid0(SALU_CYCLE_1) | instskip(SKIP_3) | instid1(SALU_CYCLE_1)
	s_cvt_f32_u32 s2, s34
	s_cvt_f32_u32 s31, s35
	s_sub_nc_u64 s[46:47], 0, s[34:35]
	v_mov_b32_e32 v13, v12
	s_fmamk_f32 s2, s31, 0x4f800000, s2
	s_delay_alu instid0(VALU_DEP_1) | instskip(NEXT) | instid1(SALU_CYCLE_2)
	v_add_nc_u64_e32 v[10:11], v[10:11], v[12:13]
	v_s_rcp_f32 s2, s2
	s_delay_alu instid0(VALU_DEP_1) | instskip(NEXT) | instid1(VALU_DEP_2)
	v_dual_mov_b32 v25, v1 :: v_dual_bitop2_b32 v24, v11, v12 bitop3:0x14
	v_xor_b32_e32 v20, v10, v12
	s_delay_alu instid0(TRANS32_DEP_1) | instskip(SKIP_1) | instid1(SALU_CYCLE_2)
	s_mul_f32 s2, s2, 0x5f7ffffc
	v_dual_mov_b32 v29, v1 :: v_dual_bitop2_b32 v12, s30, v12 bitop3:0x14
	s_mul_f32 s31, s2, 0x2f800000
	s_delay_alu instid0(SALU_CYCLE_3) | instskip(NEXT) | instid1(SALU_CYCLE_3)
	s_trunc_f32 s31, s31
	s_fmamk_f32 s2, s31, 0xcf800000, s2
	s_cvt_u32_f32 s45, s31
	s_delay_alu instid0(SALU_CYCLE_2) | instskip(NEXT) | instid1(SALU_CYCLE_3)
	s_cvt_u32_f32 s44, s2
	s_mul_u64 s[50:51], s[46:47], s[44:45]
	s_delay_alu instid0(SALU_CYCLE_1)
	s_mul_hi_u32 s55, s44, s51
	s_mul_i32 s54, s44, s51
	s_mul_hi_u32 s48, s44, s50
	s_mul_i32 s31, s45, s50
	s_add_nc_u64 s[48:49], s[48:49], s[54:55]
	s_mul_hi_u32 s2, s45, s50
	s_mul_hi_u32 s43, s45, s51
	s_add_co_u32 s31, s48, s31
	s_add_co_ci_u32 s52, s49, s2
	s_mul_i32 s50, s45, s51
	s_add_co_ci_u32 s51, s43, 0
	s_delay_alu instid0(SALU_CYCLE_1) | instskip(SKIP_3) | instid1(SALU_CYCLE_1)
	s_add_nc_u64 s[48:49], s[52:53], s[50:51]
	s_mov_b32 s51, s4
	s_add_co_u32 s44, s44, s48
	s_cselect_b32 s2, -1, 0
	s_cmp_lg_u32 s2, 0
	s_add_co_ci_u32 s45, s45, s49
	s_mov_b32 s49, s4
	s_mul_u64 s[46:47], s[46:47], s[44:45]
	s_delay_alu instid0(SALU_CYCLE_1)
	s_mul_hi_u32 s53, s44, s47
	s_mul_i32 s52, s44, s47
	s_mul_hi_u32 s50, s44, s46
	s_mul_i32 s31, s45, s46
	s_add_nc_u64 s[50:51], s[50:51], s[52:53]
	s_mul_hi_u32 s2, s45, s46
	s_mul_hi_u32 s43, s45, s47
	s_add_co_u32 s31, s50, s31
	s_add_co_ci_u32 s48, s51, s2
	s_mul_i32 s46, s45, s47
	s_add_co_ci_u32 s47, s43, 0
	s_delay_alu instid0(SALU_CYCLE_1) | instskip(NEXT) | instid1(SALU_CYCLE_1)
	s_add_nc_u64 s[46:47], s[48:49], s[46:47]
	s_add_co_u32 s2, s44, s46
	s_cselect_b32 s31, -1, 0
	v_mul_hi_u32 v28, v20, s2
	s_cmp_lg_u32 s31, 0
	s_add_co_ci_u32 s48, s45, s47
	s_and_b64 s[44:45], s[2:3], s[12:13]
	v_mul_u64_e32 v[22:23], s[48:49], v[20:21]
	v_mul_u64_e32 v[10:11], s[44:45], v[24:25]
	;; [unrolled: 1-line block ×3, first 2 shown]
	s_delay_alu instid0(VALU_DEP_3) | instskip(NEXT) | instid1(VALU_DEP_1)
	v_add_nc_u64_e32 v[22:23], v[28:29], v[22:23]
	v_add_co_u32 v7, vcc_lo, v22, v10
	s_delay_alu instid0(VALU_DEP_2) | instskip(NEXT) | instid1(VALU_DEP_4)
	v_add_co_ci_u32_e32 v28, vcc_lo, v23, v11, vcc_lo
	v_add_co_ci_u32_e32 v27, vcc_lo, 0, v27, vcc_lo
	s_delay_alu instid0(VALU_DEP_1) | instskip(NEXT) | instid1(VALU_DEP_1)
	v_add_nc_u64_e32 v[10:11], v[28:29], v[26:27]
	v_mul_u64_e32 v[22:23], s[34:35], v[10:11]
	s_delay_alu instid0(VALU_DEP_1) | instskip(NEXT) | instid1(VALU_DEP_2)
	v_sub_nc_u32_e32 v7, v24, v23
	v_sub_co_u32 v9, vcc_lo, v20, v22
	s_delay_alu instid0(VALU_DEP_1) | instskip(NEXT) | instid1(VALU_DEP_3)
	v_sub_co_ci_u32_e64 v19, null, v24, v23, vcc_lo
	v_subrev_co_ci_u32_e64 v7, null, s35, v7, vcc_lo
	s_delay_alu instid0(VALU_DEP_3) | instskip(SKIP_1) | instid1(VALU_DEP_3)
	v_sub_co_u32 v13, s2, v9, s34
	v_add_nc_u64_e32 v[22:23], 1, v[10:11]
	v_subrev_co_ci_u32_e64 v7, null, 0, v7, s2
	s_delay_alu instid0(VALU_DEP_3) | instskip(SKIP_1) | instid1(VALU_DEP_3)
	v_cmp_le_u32_e32 vcc_lo, s34, v13
	v_cndmask_b32_e64 v13, 0, -1, vcc_lo
	v_cmp_le_u32_e32 vcc_lo, s35, v7
	v_cndmask_b32_e64 v20, 0, -1, vcc_lo
	;; [unrolled: 2-line block ×4, first 2 shown]
	v_cmp_eq_u32_e32 vcc_lo, s35, v7
	v_cndmask_b32_e32 v7, v20, v13, vcc_lo
	v_cmp_eq_u32_e32 vcc_lo, s35, v19
	v_add_nc_u64_e32 v[20:21], 2, v[10:11]
	v_mov_b32_e32 v13, v12
	v_cndmask_b32_e32 v9, v24, v9, vcc_lo
	v_cmp_ne_u32_e32 vcc_lo, 0, v7
	s_delay_alu instid0(VALU_DEP_2) | instskip(SKIP_1) | instid1(VALU_DEP_1)
	v_cmp_ne_u32_e64 s2, 0, v9
	v_dual_cndmask_b32 v7, v23, v21, vcc_lo :: v_dual_cndmask_b32 v9, v22, v20, vcc_lo
	v_dual_cndmask_b32 v7, v11, v7, s2 :: v_dual_cndmask_b32 v9, v10, v9, s2
	s_delay_alu instid0(VALU_DEP_1) | instskip(NEXT) | instid1(VALU_DEP_2)
	v_xor_b32_e32 v11, v7, v12
	v_xor_b32_e32 v10, v9, v12
	s_delay_alu instid0(VALU_DEP_1)
	v_sub_nc_u64_e32 v[12:13], v[10:11], v[12:13]
                                        ; implicit-def: $vgpr10_vgpr11
.LBB1_41:                               ;   in Loop: Header=BB1_31 Depth=2
	s_and_not1_saveexec_b32 s2, s5
	s_cbranch_execz .LBB1_43
; %bb.42:                               ;   in Loop: Header=BB1_31 Depth=2
	v_cvt_f32_u32_e32 v7, s24
	s_sub_co_i32 s5, 0, s24
	s_delay_alu instid0(VALU_DEP_1) | instskip(SKIP_1) | instid1(TRANS32_DEP_1)
	v_rcp_iflag_f32_e32 v7, v7
	v_nop
	v_mul_f32_e32 v7, 0x4f7ffffe, v7
	s_delay_alu instid0(VALU_DEP_1) | instskip(NEXT) | instid1(VALU_DEP_1)
	v_cvt_u32_f32_e32 v7, v7
	v_mul_lo_u32 v9, s5, v7
	s_delay_alu instid0(VALU_DEP_1) | instskip(NEXT) | instid1(VALU_DEP_1)
	v_mul_hi_u32 v9, v7, v9
	v_add_nc_u32_e32 v7, v7, v9
	s_delay_alu instid0(VALU_DEP_1) | instskip(NEXT) | instid1(VALU_DEP_1)
	v_mul_hi_u32 v7, v10, v7
	v_mul_lo_u32 v9, v7, s24
	s_delay_alu instid0(VALU_DEP_1) | instskip(NEXT) | instid1(VALU_DEP_1)
	v_dual_sub_nc_u32 v9, v10, v9 :: v_dual_add_nc_u32 v10, 1, v7
	v_subrev_nc_u32_e32 v11, s24, v9
	v_cmp_le_u32_e32 vcc_lo, s24, v9
	s_delay_alu instid0(VALU_DEP_2) | instskip(NEXT) | instid1(VALU_DEP_1)
	v_dual_cndmask_b32 v9, v9, v11, vcc_lo :: v_dual_cndmask_b32 v7, v7, v10, vcc_lo
	v_cmp_le_u32_e32 vcc_lo, s24, v9
	s_delay_alu instid0(VALU_DEP_2) | instskip(NEXT) | instid1(VALU_DEP_1)
	v_add_nc_u32_e32 v10, 1, v7
	v_cndmask_b32_e32 v12, v7, v10, vcc_lo
.LBB1_43:                               ;   in Loop: Header=BB1_31 Depth=2
	s_or_b32 exec_lo, exec_lo, s2
	v_mad_u32 v10, v6, s14, v8
	s_and_not1_b32 vcc_lo, exec_lo, s38
	s_delay_alu instid0(VALU_DEP_1) | instskip(NEXT) | instid1(VALU_DEP_1)
	v_sub_nc_u32_e32 v6, v12, v10
	v_add_nc_u32_e32 v9, 1, v6
	s_cbranch_vccnz .LBB1_29
; %bb.44:                               ;   in Loop: Header=BB1_31 Depth=2
	v_mov_b32_e32 v8, 0
	s_mov_b32 s5, 0
	s_delay_alu instid0(VALU_DEP_2)
	v_cmp_lt_i32_e32 vcc_lo, 0, v9
	s_branch .LBB1_47
.LBB1_45:                               ;   in Loop: Header=BB1_47 Depth=3
	s_or_b32 exec_lo, exec_lo, s35
.LBB1_46:                               ;   in Loop: Header=BB1_47 Depth=3
	s_delay_alu instid0(SALU_CYCLE_1) | instskip(SKIP_1) | instid1(SALU_CYCLE_1)
	s_or_b32 exec_lo, exec_lo, s34
	s_add_co_i32 s5, s5, 1
	s_cmp_lt_i32 s5, s36
	s_cbranch_scc0 .LBB1_30
.LBB1_47:                               ;   Parent Loop BB1_15 Depth=1
                                        ;     Parent Loop BB1_31 Depth=2
                                        ; =>    This Loop Header: Depth=3
                                        ;         Child Loop BB1_50 Depth 4
                                        ;           Child Loop BB1_52 Depth 5
	s_and_saveexec_b32 s34, s1
	s_cbranch_execz .LBB1_46
; %bb.48:                               ;   in Loop: Header=BB1_47 Depth=3
	s_add_co_i32 s30, s5, s33
	s_mov_b32 s35, 0
	s_ashr_i32 s31, s30, 31
	s_mov_b32 s43, 0
	s_mul_u64 s[30:31], s[10:11], s[30:31]
	s_delay_alu instid0(SALU_CYCLE_1) | instskip(NEXT) | instid1(SALU_CYCLE_1)
	s_lshl_b64 s[30:31], s[30:31], 2
	s_add_nc_u64 s[30:31], s[8:9], s[30:31]
	s_branch .LBB1_50
.LBB1_49:                               ;   in Loop: Header=BB1_50 Depth=4
	s_or_b32 exec_lo, exec_lo, s44
	s_add_co_i32 s43, s43, 1
	s_delay_alu instid0(SALU_CYCLE_1) | instskip(SKIP_1) | instid1(SALU_CYCLE_1)
	v_cmp_ge_i32_e64 s2, s43, v17
	s_or_b32 s35, s2, s35
	s_and_not1_b32 exec_lo, exec_lo, s35
	s_cbranch_execz .LBB1_45
.LBB1_50:                               ;   Parent Loop BB1_15 Depth=1
                                        ;     Parent Loop BB1_31 Depth=2
                                        ;       Parent Loop BB1_47 Depth=3
                                        ; =>      This Loop Header: Depth=4
                                        ;           Child Loop BB1_52 Depth 5
	s_and_saveexec_b32 s44, vcc_lo
	s_cbranch_execz .LBB1_49
; %bb.51:                               ;   in Loop: Header=BB1_50 Depth=4
	v_add_nc_u32_e32 v6, s43, v3
	s_mov_b32 s45, 0
	s_mov_b32 s46, 0
	s_delay_alu instid0(VALU_DEP_1) | instskip(NEXT) | instid1(VALU_DEP_1)
	v_ashrrev_i32_e32 v7, 31, v6
	v_mul_u64_e32 v[6:7], s[16:17], v[6:7]
	s_delay_alu instid0(VALU_DEP_1)
	v_lshl_add_u64 v[6:7], v[6:7], 2, s[30:31]
.LBB1_52:                               ;   Parent Loop BB1_15 Depth=1
                                        ;     Parent Loop BB1_31 Depth=2
                                        ;       Parent Loop BB1_47 Depth=3
                                        ;         Parent Loop BB1_50 Depth=4
                                        ; =>        This Inner Loop Header: Depth=5
	v_add_nc_u32_e32 v12, s46, v10
	s_add_co_i32 s46, s46, 1
	s_delay_alu instid0(SALU_CYCLE_1) | instskip(NEXT) | instid1(VALU_DEP_2)
	v_cmp_ge_i32_e64 s2, s46, v9
	v_ashrrev_i32_e32 v13, 31, v12
	s_or_b32 s45, s2, s45
	s_delay_alu instid0(VALU_DEP_1) | instskip(NEXT) | instid1(VALU_DEP_1)
	v_mul_u64_e32 v[12:13], s[18:19], v[12:13]
	v_lshl_add_u64 v[12:13], v[12:13], 2, v[6:7]
	global_load_b32 v11, v[12:13], off
	s_wait_loadcnt 0x0
	v_add_f32_e32 v8, v8, v11
	s_wait_xcnt 0x0
	s_and_not1_b32 exec_lo, exec_lo, s45
	s_cbranch_execnz .LBB1_52
; %bb.53:                               ;   in Loop: Header=BB1_50 Depth=4
	s_or_b32 exec_lo, exec_lo, s45
	s_branch .LBB1_49
.LBB1_54:
	s_endpgm
.LBB1_55:
                                        ; implicit-def: $sgpr22_sgpr23
	s_branch .LBB1_2
.LBB1_56:
                                        ; implicit-def: $sgpr26_sgpr27
	s_branch .LBB1_5
.LBB1_57:
                                        ; implicit-def: $sgpr30_sgpr31
	s_load_b32 s27, s[0:1], 0x6c
	s_branch .LBB1_8
.LBB1_58:
                                        ; implicit-def: $sgpr34_sgpr35
	s_load_b32 s41, s[0:1], 0x64
	s_branch .LBB1_12
	.section	.rodata,"a",@progbits
	.p2align	6, 0x0
	.amdhsa_kernel _ZN2at6native12_GLOBAL__N_119adaptiveaveragepoolIffEEvPKT_PS3_iiiiiilllllll
		.amdhsa_group_segment_fixed_size 0
		.amdhsa_private_segment_fixed_size 0
		.amdhsa_kernarg_size 352
		.amdhsa_user_sgpr_count 2
		.amdhsa_user_sgpr_dispatch_ptr 0
		.amdhsa_user_sgpr_queue_ptr 0
		.amdhsa_user_sgpr_kernarg_segment_ptr 1
		.amdhsa_user_sgpr_dispatch_id 0
		.amdhsa_user_sgpr_kernarg_preload_length 0
		.amdhsa_user_sgpr_kernarg_preload_offset 0
		.amdhsa_user_sgpr_private_segment_size 0
		.amdhsa_wavefront_size32 1
		.amdhsa_uses_dynamic_stack 0
		.amdhsa_enable_private_segment 0
		.amdhsa_system_sgpr_workgroup_id_x 1
		.amdhsa_system_sgpr_workgroup_id_y 1
		.amdhsa_system_sgpr_workgroup_id_z 0
		.amdhsa_system_sgpr_workgroup_info 0
		.amdhsa_system_vgpr_workitem_id 1
		.amdhsa_next_free_vgpr 30
		.amdhsa_next_free_sgpr 56
		.amdhsa_named_barrier_count 0
		.amdhsa_reserve_vcc 1
		.amdhsa_float_round_mode_32 0
		.amdhsa_float_round_mode_16_64 0
		.amdhsa_float_denorm_mode_32 3
		.amdhsa_float_denorm_mode_16_64 3
		.amdhsa_fp16_overflow 0
		.amdhsa_memory_ordered 1
		.amdhsa_forward_progress 1
		.amdhsa_inst_pref_size 62
		.amdhsa_round_robin_scheduling 0
		.amdhsa_exception_fp_ieee_invalid_op 0
		.amdhsa_exception_fp_denorm_src 0
		.amdhsa_exception_fp_ieee_div_zero 0
		.amdhsa_exception_fp_ieee_overflow 0
		.amdhsa_exception_fp_ieee_underflow 0
		.amdhsa_exception_fp_ieee_inexact 0
		.amdhsa_exception_int_div_zero 0
	.end_amdhsa_kernel
	.section	.text._ZN2at6native12_GLOBAL__N_119adaptiveaveragepoolIffEEvPKT_PS3_iiiiiilllllll,"axG",@progbits,_ZN2at6native12_GLOBAL__N_119adaptiveaveragepoolIffEEvPKT_PS3_iiiiiilllllll,comdat
.Lfunc_end1:
	.size	_ZN2at6native12_GLOBAL__N_119adaptiveaveragepoolIffEEvPKT_PS3_iiiiiilllllll, .Lfunc_end1-_ZN2at6native12_GLOBAL__N_119adaptiveaveragepoolIffEEvPKT_PS3_iiiiiilllllll
                                        ; -- End function
	.set _ZN2at6native12_GLOBAL__N_119adaptiveaveragepoolIffEEvPKT_PS3_iiiiiilllllll.num_vgpr, 30
	.set _ZN2at6native12_GLOBAL__N_119adaptiveaveragepoolIffEEvPKT_PS3_iiiiiilllllll.num_agpr, 0
	.set _ZN2at6native12_GLOBAL__N_119adaptiveaveragepoolIffEEvPKT_PS3_iiiiiilllllll.numbered_sgpr, 56
	.set _ZN2at6native12_GLOBAL__N_119adaptiveaveragepoolIffEEvPKT_PS3_iiiiiilllllll.num_named_barrier, 0
	.set _ZN2at6native12_GLOBAL__N_119adaptiveaveragepoolIffEEvPKT_PS3_iiiiiilllllll.private_seg_size, 0
	.set _ZN2at6native12_GLOBAL__N_119adaptiveaveragepoolIffEEvPKT_PS3_iiiiiilllllll.uses_vcc, 1
	.set _ZN2at6native12_GLOBAL__N_119adaptiveaveragepoolIffEEvPKT_PS3_iiiiiilllllll.uses_flat_scratch, 0
	.set _ZN2at6native12_GLOBAL__N_119adaptiveaveragepoolIffEEvPKT_PS3_iiiiiilllllll.has_dyn_sized_stack, 0
	.set _ZN2at6native12_GLOBAL__N_119adaptiveaveragepoolIffEEvPKT_PS3_iiiiiilllllll.has_recursion, 0
	.set _ZN2at6native12_GLOBAL__N_119adaptiveaveragepoolIffEEvPKT_PS3_iiiiiilllllll.has_indirect_call, 0
	.section	.AMDGPU.csdata,"",@progbits
; Kernel info:
; codeLenInByte = 7920
; TotalNumSgprs: 58
; NumVgprs: 30
; ScratchSize: 0
; MemoryBound: 0
; FloatMode: 240
; IeeeMode: 1
; LDSByteSize: 0 bytes/workgroup (compile time only)
; SGPRBlocks: 0
; VGPRBlocks: 1
; NumSGPRsForWavesPerEU: 58
; NumVGPRsForWavesPerEU: 30
; NamedBarCnt: 0
; Occupancy: 16
; WaveLimiterHint : 0
; COMPUTE_PGM_RSRC2:SCRATCH_EN: 0
; COMPUTE_PGM_RSRC2:USER_SGPR: 2
; COMPUTE_PGM_RSRC2:TRAP_HANDLER: 0
; COMPUTE_PGM_RSRC2:TGID_X_EN: 1
; COMPUTE_PGM_RSRC2:TGID_Y_EN: 1
; COMPUTE_PGM_RSRC2:TGID_Z_EN: 0
; COMPUTE_PGM_RSRC2:TIDIG_COMP_CNT: 1
	.section	.text._ZN2at6native12_GLOBAL__N_119adaptiveaveragepoolIN3c104HalfEfEEvPKT_PS5_iiiiiilllllll,"axG",@progbits,_ZN2at6native12_GLOBAL__N_119adaptiveaveragepoolIN3c104HalfEfEEvPKT_PS5_iiiiiilllllll,comdat
	.globl	_ZN2at6native12_GLOBAL__N_119adaptiveaveragepoolIN3c104HalfEfEEvPKT_PS5_iiiiiilllllll ; -- Begin function _ZN2at6native12_GLOBAL__N_119adaptiveaveragepoolIN3c104HalfEfEEvPKT_PS5_iiiiiilllllll
	.p2align	8
	.type	_ZN2at6native12_GLOBAL__N_119adaptiveaveragepoolIN3c104HalfEfEEvPKT_PS5_iiiiiilllllll,@function
_ZN2at6native12_GLOBAL__N_119adaptiveaveragepoolIN3c104HalfEfEEvPKT_PS5_iiiiiilllllll: ; @_ZN2at6native12_GLOBAL__N_119adaptiveaveragepoolIN3c104HalfEfEEvPKT_PS5_iiiiiilllllll
; %bb.0:
	s_clause 0x2
	s_load_b64 s[2:3], s[0:1], 0x58
	s_load_b128 s[12:15], s[0:1], 0x10
	s_load_b64 s[20:21], s[0:1], 0x20
	s_bfe_u32 s4, ttmp6, 0x4000c
	s_and_b32 s5, ttmp6, 15
	s_add_co_i32 s4, s4, 1
	s_getreg_b32 s28, hwreg(HW_REG_IB_STS2, 6, 4)
	s_mul_i32 s4, ttmp9, s4
	s_mov_b32 s7, 0
	s_add_co_i32 s5, s5, s4
	s_cmp_eq_u32 s28, 0
	s_cselect_b32 s6, ttmp9, s5
	s_wait_kmcnt 0x0
	s_add_nc_u64 s[2:3], s[2:3], s[6:7]
	s_ashr_i32 s5, s15, 31
	s_mov_b32 s4, s15
	s_delay_alu instid0(SALU_CYCLE_1) | instskip(NEXT) | instid1(SALU_CYCLE_1)
	s_or_b64 s[8:9], s[2:3], s[4:5]
	s_and_b64 s[8:9], s[8:9], 0xffffffff00000000
	s_delay_alu instid0(SALU_CYCLE_1)
	s_cmp_lg_u64 s[8:9], 0
	s_cbranch_scc0 .LBB2_55
; %bb.1:
	s_ashr_i32 s8, s5, 31
	s_delay_alu instid0(SALU_CYCLE_1) | instskip(NEXT) | instid1(SALU_CYCLE_1)
	s_mov_b32 s9, s8
	s_add_nc_u64 s[10:11], s[4:5], s[8:9]
	s_delay_alu instid0(SALU_CYCLE_1) | instskip(NEXT) | instid1(SALU_CYCLE_1)
	s_xor_b64 s[10:11], s[10:11], s[8:9]
	s_cvt_f32_u32 s6, s10
	s_cvt_f32_u32 s15, s11
	s_sub_nc_u64 s[18:19], 0, s[10:11]
	s_delay_alu instid0(SALU_CYCLE_2) | instskip(NEXT) | instid1(SALU_CYCLE_3)
	s_fmamk_f32 s6, s15, 0x4f800000, s6
	v_s_rcp_f32 s6, s6
	s_delay_alu instid0(TRANS32_DEP_1) | instskip(NEXT) | instid1(SALU_CYCLE_3)
	s_mul_f32 s6, s6, 0x5f7ffffc
	s_mul_f32 s15, s6, 0x2f800000
	s_delay_alu instid0(SALU_CYCLE_3) | instskip(NEXT) | instid1(SALU_CYCLE_3)
	s_trunc_f32 s15, s15
	s_fmamk_f32 s6, s15, 0xcf800000, s6
	s_cvt_u32_f32 s17, s15
	s_delay_alu instid0(SALU_CYCLE_2) | instskip(NEXT) | instid1(SALU_CYCLE_3)
	s_cvt_u32_f32 s16, s6
	s_mul_u64 s[22:23], s[18:19], s[16:17]
	s_delay_alu instid0(SALU_CYCLE_1)
	s_mul_hi_u32 s25, s16, s23
	s_mul_i32 s24, s16, s23
	s_mul_hi_u32 s6, s16, s22
	s_mul_i32 s26, s17, s22
	s_add_nc_u64 s[24:25], s[6:7], s[24:25]
	s_mul_hi_u32 s15, s17, s22
	s_mul_hi_u32 s27, s17, s23
	s_add_co_u32 s6, s24, s26
	s_add_co_ci_u32 s6, s25, s15
	s_mul_i32 s22, s17, s23
	s_add_co_ci_u32 s23, s27, 0
	s_delay_alu instid0(SALU_CYCLE_1) | instskip(NEXT) | instid1(SALU_CYCLE_1)
	s_add_nc_u64 s[22:23], s[6:7], s[22:23]
	s_add_co_u32 s16, s16, s22
	s_cselect_b32 s6, -1, 0
	s_delay_alu instid0(SALU_CYCLE_1) | instskip(SKIP_1) | instid1(SALU_CYCLE_1)
	s_cmp_lg_u32 s6, 0
	s_add_co_ci_u32 s17, s17, s23
	s_mul_u64 s[18:19], s[18:19], s[16:17]
	s_delay_alu instid0(SALU_CYCLE_1)
	s_mul_hi_u32 s23, s16, s19
	s_mul_i32 s22, s16, s19
	s_mul_hi_u32 s6, s16, s18
	s_mul_i32 s24, s17, s18
	s_add_nc_u64 s[22:23], s[6:7], s[22:23]
	s_mul_hi_u32 s15, s17, s18
	s_mul_hi_u32 s25, s17, s19
	s_add_co_u32 s6, s22, s24
	s_add_co_ci_u32 s6, s23, s15
	s_mul_i32 s18, s17, s19
	s_add_co_ci_u32 s19, s25, 0
	s_delay_alu instid0(SALU_CYCLE_1) | instskip(NEXT) | instid1(SALU_CYCLE_1)
	s_add_nc_u64 s[18:19], s[6:7], s[18:19]
	s_add_co_u32 s15, s16, s18
	s_cselect_b32 s6, -1, 0
	s_delay_alu instid0(SALU_CYCLE_1) | instskip(SKIP_2) | instid1(SALU_CYCLE_1)
	s_cmp_lg_u32 s6, 0
	s_add_co_ci_u32 s24, s17, s19
	s_ashr_i32 s16, s3, 31
	s_mov_b32 s17, s16
	s_delay_alu instid0(SALU_CYCLE_1) | instskip(NEXT) | instid1(SALU_CYCLE_1)
	s_add_nc_u64 s[18:19], s[2:3], s[16:17]
	s_xor_b64 s[18:19], s[18:19], s[16:17]
	s_delay_alu instid0(SALU_CYCLE_1)
	s_mul_hi_u32 s23, s18, s24
	s_mul_i32 s22, s18, s24
	s_mul_hi_u32 s6, s18, s15
	s_mul_hi_u32 s26, s19, s15
	s_mul_i32 s15, s19, s15
	s_add_nc_u64 s[22:23], s[6:7], s[22:23]
	s_mul_hi_u32 s25, s19, s24
	s_add_co_u32 s6, s22, s15
	s_add_co_ci_u32 s6, s23, s26
	s_mul_i32 s24, s19, s24
	s_add_co_ci_u32 s25, s25, 0
	s_delay_alu instid0(SALU_CYCLE_1) | instskip(NEXT) | instid1(SALU_CYCLE_1)
	s_add_nc_u64 s[22:23], s[6:7], s[24:25]
	s_and_b64 s[24:25], s[22:23], 0xffffffff00000000
	s_delay_alu instid0(SALU_CYCLE_1) | instskip(NEXT) | instid1(SALU_CYCLE_1)
	s_or_b32 s24, s24, s22
	s_mul_u64 s[22:23], s[10:11], s[24:25]
	s_add_nc_u64 s[30:31], s[24:25], 2
	s_sub_co_u32 s6, s18, s22
	s_cselect_b32 s15, -1, 0
	s_sub_co_i32 s18, s19, s23
	s_cmp_lg_u32 s15, 0
	s_sub_co_ci_u32 s18, s18, s11
	s_sub_co_u32 s22, s6, s10
	s_cselect_b32 s26, -1, 0
	s_delay_alu instid0(SALU_CYCLE_1) | instskip(SKIP_2) | instid1(SALU_CYCLE_1)
	s_cmp_lg_u32 s26, 0
	s_add_nc_u64 s[26:27], s[24:25], 1
	s_sub_co_ci_u32 s18, s18, 0
	s_cmp_ge_u32 s18, s11
	s_cselect_b32 s29, -1, 0
	s_cmp_ge_u32 s22, s10
	s_cselect_b32 s22, -1, 0
	s_cmp_eq_u32 s18, s11
	s_cselect_b32 s18, s22, s29
	s_delay_alu instid0(SALU_CYCLE_1) | instskip(SKIP_4) | instid1(SALU_CYCLE_1)
	s_cmp_lg_u32 s18, 0
	s_cselect_b32 s18, s30, s26
	s_cselect_b32 s22, s31, s27
	s_cmp_lg_u32 s15, 0
	s_sub_co_ci_u32 s15, s19, s23
	s_cmp_ge_u32 s15, s11
	s_cselect_b32 s19, -1, 0
	s_cmp_ge_u32 s6, s10
	s_cselect_b32 s6, -1, 0
	s_cmp_eq_u32 s15, s11
	s_cselect_b32 s6, s6, s19
	s_delay_alu instid0(SALU_CYCLE_1) | instskip(SKIP_3) | instid1(SALU_CYCLE_1)
	s_cmp_lg_u32 s6, 0
	s_cselect_b32 s11, s22, s25
	s_cselect_b32 s10, s18, s24
	s_xor_b64 s[8:9], s[16:17], s[8:9]
	s_xor_b64 s[10:11], s[10:11], s[8:9]
	s_delay_alu instid0(SALU_CYCLE_1)
	s_sub_nc_u64 s[22:23], s[10:11], s[8:9]
	s_and_not1_b32 vcc_lo, exec_lo, s7
	s_cbranch_vccnz .LBB2_3
.LBB2_2:
	v_cvt_f32_u32_e32 v1, s4
	s_sub_co_i32 s7, 0, s4
	s_mov_b32 s23, 0
	s_delay_alu instid0(VALU_DEP_1) | instskip(SKIP_1) | instid1(TRANS32_DEP_1)
	v_rcp_iflag_f32_e32 v1, v1
	v_nop
	v_mul_f32_e32 v1, 0x4f7ffffe, v1
	s_delay_alu instid0(VALU_DEP_1) | instskip(NEXT) | instid1(VALU_DEP_1)
	v_cvt_u32_f32_e32 v1, v1
	v_readfirstlane_b32 s6, v1
	s_mul_i32 s7, s7, s6
	s_delay_alu instid0(SALU_CYCLE_1) | instskip(NEXT) | instid1(SALU_CYCLE_1)
	s_mul_hi_u32 s7, s6, s7
	s_add_co_i32 s6, s6, s7
	s_delay_alu instid0(SALU_CYCLE_1) | instskip(NEXT) | instid1(SALU_CYCLE_1)
	s_mul_hi_u32 s6, s2, s6
	s_mul_i32 s7, s6, s4
	s_add_co_i32 s8, s6, 1
	s_sub_co_i32 s7, s2, s7
	s_delay_alu instid0(SALU_CYCLE_1)
	s_sub_co_i32 s9, s7, s4
	s_cmp_ge_u32 s7, s4
	s_cselect_b32 s6, s8, s6
	s_cselect_b32 s7, s9, s7
	s_add_co_i32 s8, s6, 1
	s_cmp_ge_u32 s7, s4
	s_cselect_b32 s22, s8, s6
.LBB2_3:
	s_abs_i32 s8, s4
	s_ashr_i32 s25, s12, 31
	s_cvt_f32_u32 s6, s8
	s_sub_co_i32 s10, 0, s8
	s_mov_b32 s24, s12
	s_delay_alu instid0(SALU_CYCLE_1) | instskip(SKIP_1) | instid1(TRANS32_DEP_1)
	v_rcp_iflag_f32_e32 v1, s6
	v_nop
	v_readfirstlane_b32 s6, v1
	s_mul_f32 s6, s6, 0x4f7ffffe
	s_delay_alu instid0(SALU_CYCLE_3) | instskip(SKIP_1) | instid1(SALU_CYCLE_1)
	s_cvt_u32_f32 s9, s6
	s_mul_u64 s[6:7], s[22:23], s[4:5]
	s_sub_nc_u64 s[6:7], s[2:3], s[6:7]
	s_delay_alu instid0(SALU_CYCLE_1) | instskip(SKIP_2) | instid1(SALU_CYCLE_1)
	s_mul_i32 s10, s10, s9
	s_abs_i32 s11, s6
	s_mul_hi_u32 s10, s9, s10
	s_add_co_i32 s9, s9, s10
	s_xor_b32 s10, s6, s4
	s_mul_hi_u32 s9, s11, s9
	s_ashr_i32 s10, s10, 31
	s_mul_i32 s15, s9, s8
	s_delay_alu instid0(SALU_CYCLE_1)
	s_sub_co_i32 s11, s11, s15
	s_add_co_i32 s15, s9, 1
	s_sub_co_i32 s16, s11, s8
	s_cmp_ge_u32 s11, s8
	s_cselect_b32 s9, s15, s9
	s_cselect_b32 s11, s16, s11
	s_add_co_i32 s15, s9, 1
	s_cmp_ge_u32 s11, s8
	s_cselect_b32 s8, s15, s9
	s_delay_alu instid0(SALU_CYCLE_1) | instskip(NEXT) | instid1(SALU_CYCLE_1)
	s_xor_b32 s8, s8, s10
	s_sub_co_i32 s15, s8, s10
	s_delay_alu instid0(SALU_CYCLE_1) | instskip(NEXT) | instid1(SALU_CYCLE_1)
	s_mul_i32 s8, s15, s4
	s_sub_co_i32 s8, s6, s8
	s_delay_alu instid0(SALU_CYCLE_1) | instskip(NEXT) | instid1(SALU_CYCLE_1)
	s_ashr_i32 s9, s8, 31
	s_mul_u64 s[8:9], s[8:9], s[24:25]
	s_delay_alu instid0(SALU_CYCLE_1) | instskip(NEXT) | instid1(SALU_CYCLE_1)
	s_or_b64 s[10:11], s[8:9], s[4:5]
	s_and_b64 s[10:11], s[10:11], 0xffffffff00000000
	s_delay_alu instid0(SALU_CYCLE_1)
	s_cmp_lg_u64 s[10:11], 0
	s_mov_b32 s11, 0
	s_cbranch_scc0 .LBB2_56
; %bb.4:
	s_ashr_i32 s16, s5, 31
	s_delay_alu instid0(SALU_CYCLE_1) | instskip(NEXT) | instid1(SALU_CYCLE_1)
	s_mov_b32 s17, s16
	s_add_nc_u64 s[18:19], s[4:5], s[16:17]
	s_delay_alu instid0(SALU_CYCLE_1) | instskip(NEXT) | instid1(SALU_CYCLE_1)
	s_xor_b64 s[18:19], s[18:19], s[16:17]
	s_cvt_f32_u32 s10, s18
	s_cvt_f32_u32 s12, s19
	s_sub_nc_u64 s[30:31], 0, s[18:19]
	s_delay_alu instid0(SALU_CYCLE_2) | instskip(NEXT) | instid1(SALU_CYCLE_3)
	s_fmamk_f32 s10, s12, 0x4f800000, s10
	v_s_rcp_f32 s10, s10
	s_delay_alu instid0(TRANS32_DEP_1) | instskip(NEXT) | instid1(SALU_CYCLE_3)
	s_mul_f32 s10, s10, 0x5f7ffffc
	s_mul_f32 s12, s10, 0x2f800000
	s_delay_alu instid0(SALU_CYCLE_3) | instskip(NEXT) | instid1(SALU_CYCLE_3)
	s_trunc_f32 s12, s12
	s_fmamk_f32 s10, s12, 0xcf800000, s10
	s_cvt_u32_f32 s27, s12
	s_delay_alu instid0(SALU_CYCLE_2) | instskip(NEXT) | instid1(SALU_CYCLE_3)
	s_cvt_u32_f32 s26, s10
	s_mul_u64 s[34:35], s[30:31], s[26:27]
	s_delay_alu instid0(SALU_CYCLE_1)
	s_mul_hi_u32 s37, s26, s35
	s_mul_i32 s36, s26, s35
	s_mul_hi_u32 s10, s26, s34
	s_mul_i32 s29, s27, s34
	s_add_nc_u64 s[36:37], s[10:11], s[36:37]
	s_mul_hi_u32 s12, s27, s34
	s_mul_hi_u32 s33, s27, s35
	s_add_co_u32 s10, s36, s29
	s_add_co_ci_u32 s10, s37, s12
	s_mul_i32 s34, s27, s35
	s_add_co_ci_u32 s35, s33, 0
	s_delay_alu instid0(SALU_CYCLE_1) | instskip(NEXT) | instid1(SALU_CYCLE_1)
	s_add_nc_u64 s[34:35], s[10:11], s[34:35]
	s_add_co_u32 s26, s26, s34
	s_cselect_b32 s10, -1, 0
	s_delay_alu instid0(SALU_CYCLE_1) | instskip(SKIP_1) | instid1(SALU_CYCLE_1)
	s_cmp_lg_u32 s10, 0
	s_add_co_ci_u32 s27, s27, s35
	s_mul_u64 s[30:31], s[30:31], s[26:27]
	s_delay_alu instid0(SALU_CYCLE_1)
	s_mul_hi_u32 s35, s26, s31
	s_mul_i32 s34, s26, s31
	s_mul_hi_u32 s10, s26, s30
	s_mul_i32 s29, s27, s30
	s_add_nc_u64 s[34:35], s[10:11], s[34:35]
	s_mul_hi_u32 s12, s27, s30
	s_mul_hi_u32 s33, s27, s31
	s_add_co_u32 s10, s34, s29
	s_add_co_ci_u32 s10, s35, s12
	s_mul_i32 s30, s27, s31
	s_add_co_ci_u32 s31, s33, 0
	s_delay_alu instid0(SALU_CYCLE_1) | instskip(NEXT) | instid1(SALU_CYCLE_1)
	s_add_nc_u64 s[30:31], s[10:11], s[30:31]
	s_add_co_u32 s12, s26, s30
	s_cselect_b32 s10, -1, 0
	s_delay_alu instid0(SALU_CYCLE_1) | instskip(SKIP_2) | instid1(SALU_CYCLE_1)
	s_cmp_lg_u32 s10, 0
	s_add_co_ci_u32 s29, s27, s31
	s_ashr_i32 s26, s9, 31
	s_mov_b32 s27, s26
	s_delay_alu instid0(SALU_CYCLE_1) | instskip(NEXT) | instid1(SALU_CYCLE_1)
	s_add_nc_u64 s[30:31], s[8:9], s[26:27]
	s_xor_b64 s[30:31], s[30:31], s[26:27]
	s_delay_alu instid0(SALU_CYCLE_1)
	s_mul_hi_u32 s35, s30, s29
	s_mul_i32 s34, s30, s29
	s_mul_hi_u32 s10, s30, s12
	s_mul_hi_u32 s33, s31, s12
	s_mul_i32 s12, s31, s12
	s_add_nc_u64 s[34:35], s[10:11], s[34:35]
	s_mul_hi_u32 s9, s31, s29
	s_add_co_u32 s10, s34, s12
	s_add_co_ci_u32 s10, s35, s33
	s_mul_i32 s36, s31, s29
	s_add_co_ci_u32 s37, s9, 0
	s_delay_alu instid0(SALU_CYCLE_1) | instskip(NEXT) | instid1(SALU_CYCLE_1)
	s_add_nc_u64 s[34:35], s[10:11], s[36:37]
	s_and_b64 s[36:37], s[34:35], 0xffffffff00000000
	s_delay_alu instid0(SALU_CYCLE_1) | instskip(NEXT) | instid1(SALU_CYCLE_1)
	s_or_b32 s36, s36, s34
	s_mul_u64 s[34:35], s[18:19], s[36:37]
	s_add_nc_u64 s[38:39], s[36:37], 1
	s_sub_co_u32 s9, s30, s34
	s_cselect_b32 s10, -1, 0
	s_sub_co_i32 s12, s31, s35
	s_cmp_lg_u32 s10, 0
	s_add_nc_u64 s[40:41], s[36:37], 2
	s_sub_co_ci_u32 s12, s12, s19
	s_sub_co_u32 s29, s9, s18
	s_cselect_b32 s30, -1, 0
	s_delay_alu instid0(SALU_CYCLE_1) | instskip(SKIP_1) | instid1(SALU_CYCLE_1)
	s_cmp_lg_u32 s30, 0
	s_sub_co_ci_u32 s12, s12, 0
	s_cmp_ge_u32 s12, s19
	s_cselect_b32 s30, -1, 0
	s_cmp_ge_u32 s29, s18
	s_cselect_b32 s29, -1, 0
	s_cmp_eq_u32 s12, s19
	s_cselect_b32 s12, s29, s30
	s_delay_alu instid0(SALU_CYCLE_1) | instskip(SKIP_4) | instid1(SALU_CYCLE_1)
	s_cmp_lg_u32 s12, 0
	s_cselect_b32 s12, s40, s38
	s_cselect_b32 s29, s41, s39
	s_cmp_lg_u32 s10, 0
	s_sub_co_ci_u32 s10, s31, s35
	s_cmp_ge_u32 s10, s19
	s_cselect_b32 s30, -1, 0
	s_cmp_ge_u32 s9, s18
	s_cselect_b32 s9, -1, 0
	s_cmp_eq_u32 s10, s19
	s_cselect_b32 s9, s9, s30
	s_delay_alu instid0(SALU_CYCLE_1) | instskip(SKIP_3) | instid1(SALU_CYCLE_1)
	s_cmp_lg_u32 s9, 0
	s_cselect_b32 s19, s29, s37
	s_cselect_b32 s18, s12, s36
	s_xor_b64 s[16:17], s[26:27], s[16:17]
	s_xor_b64 s[18:19], s[18:19], s[16:17]
	s_delay_alu instid0(SALU_CYCLE_1)
	s_sub_nc_u64 s[26:27], s[18:19], s[16:17]
	s_and_not1_b32 vcc_lo, exec_lo, s11
	s_cbranch_vccnz .LBB2_6
.LBB2_5:
	v_cvt_f32_u32_e32 v1, s4
	s_sub_co_i32 s10, 0, s4
	s_delay_alu instid0(VALU_DEP_1) | instskip(SKIP_1) | instid1(TRANS32_DEP_1)
	v_rcp_iflag_f32_e32 v1, v1
	v_nop
	v_mul_f32_e32 v1, 0x4f7ffffe, v1
	s_delay_alu instid0(VALU_DEP_1) | instskip(NEXT) | instid1(VALU_DEP_1)
	v_cvt_u32_f32_e32 v1, v1
	v_readfirstlane_b32 s9, v1
	s_mul_i32 s10, s10, s9
	s_delay_alu instid0(SALU_CYCLE_1) | instskip(NEXT) | instid1(SALU_CYCLE_1)
	s_mul_hi_u32 s10, s9, s10
	s_add_co_i32 s9, s9, s10
	s_delay_alu instid0(SALU_CYCLE_1) | instskip(NEXT) | instid1(SALU_CYCLE_1)
	s_mul_hi_u32 s9, s8, s9
	s_mul_i32 s10, s9, s4
	s_delay_alu instid0(SALU_CYCLE_1)
	s_sub_co_i32 s8, s8, s10
	s_add_co_i32 s10, s9, 1
	s_sub_co_i32 s11, s8, s4
	s_cmp_ge_u32 s8, s4
	s_cselect_b32 s9, s10, s9
	s_cselect_b32 s8, s11, s8
	s_add_co_i32 s10, s9, 1
	s_cmp_ge_u32 s8, s4
	s_cselect_b32 s26, s10, s9
.LBB2_6:
	s_add_nc_u64 s[6:7], s[6:7], 1
	s_delay_alu instid0(SALU_CYCLE_1) | instskip(NEXT) | instid1(SALU_CYCLE_1)
	s_mul_u64 s[6:7], s[6:7], s[24:25]
	s_add_nc_u64 s[6:7], s[6:7], -1
	s_delay_alu instid0(SALU_CYCLE_1) | instskip(NEXT) | instid1(SALU_CYCLE_1)
	s_or_b64 s[8:9], s[6:7], s[4:5]
	s_and_b64 s[8:9], s[8:9], 0xffffffff00000000
	s_delay_alu instid0(SALU_CYCLE_1)
	s_cmp_lg_u64 s[8:9], 0
	s_cbranch_scc0 .LBB2_57
; %bb.7:
	s_ashr_i32 s8, s5, 31
	s_delay_alu instid0(SALU_CYCLE_1) | instskip(NEXT) | instid1(SALU_CYCLE_1)
	s_mov_b32 s9, s8
	s_add_nc_u64 s[10:11], s[4:5], s[8:9]
	s_delay_alu instid0(SALU_CYCLE_1) | instskip(SKIP_4) | instid1(SALU_CYCLE_2)
	s_xor_b64 s[16:17], s[10:11], s[8:9]
	s_mov_b32 s11, 0
	s_cvt_f32_u32 s5, s16
	s_cvt_f32_u32 s10, s17
	s_sub_nc_u64 s[30:31], 0, s[16:17]
	s_fmamk_f32 s5, s10, 0x4f800000, s5
	s_delay_alu instid0(SALU_CYCLE_3) | instskip(NEXT) | instid1(TRANS32_DEP_1)
	v_s_rcp_f32 s5, s5
	s_mul_f32 s5, s5, 0x5f7ffffc
	s_delay_alu instid0(SALU_CYCLE_3) | instskip(NEXT) | instid1(SALU_CYCLE_3)
	s_mul_f32 s10, s5, 0x2f800000
	s_trunc_f32 s10, s10
	s_delay_alu instid0(SALU_CYCLE_3) | instskip(SKIP_1) | instid1(SALU_CYCLE_2)
	s_fmamk_f32 s5, s10, 0xcf800000, s5
	s_cvt_u32_f32 s19, s10
	s_cvt_u32_f32 s18, s5
	s_delay_alu instid0(SALU_CYCLE_3) | instskip(NEXT) | instid1(SALU_CYCLE_1)
	s_mul_u64 s[34:35], s[30:31], s[18:19]
	s_mul_hi_u32 s37, s18, s35
	s_mul_i32 s36, s18, s35
	s_mul_hi_u32 s10, s18, s34
	s_mul_i32 s12, s19, s34
	s_add_nc_u64 s[36:37], s[10:11], s[36:37]
	s_mul_hi_u32 s5, s19, s34
	s_mul_hi_u32 s25, s19, s35
	s_add_co_u32 s10, s36, s12
	s_add_co_ci_u32 s10, s37, s5
	s_mul_i32 s34, s19, s35
	s_add_co_ci_u32 s35, s25, 0
	s_delay_alu instid0(SALU_CYCLE_1) | instskip(NEXT) | instid1(SALU_CYCLE_1)
	s_add_nc_u64 s[34:35], s[10:11], s[34:35]
	s_add_co_u32 s18, s18, s34
	s_cselect_b32 s5, -1, 0
	s_delay_alu instid0(SALU_CYCLE_1) | instskip(SKIP_1) | instid1(SALU_CYCLE_1)
	s_cmp_lg_u32 s5, 0
	s_add_co_ci_u32 s19, s19, s35
	s_mul_u64 s[30:31], s[30:31], s[18:19]
	s_delay_alu instid0(SALU_CYCLE_1)
	s_mul_hi_u32 s35, s18, s31
	s_mul_i32 s34, s18, s31
	s_mul_hi_u32 s10, s18, s30
	s_mul_i32 s12, s19, s30
	s_add_nc_u64 s[34:35], s[10:11], s[34:35]
	s_mul_hi_u32 s5, s19, s30
	s_mul_hi_u32 s25, s19, s31
	s_add_co_u32 s10, s34, s12
	s_add_co_ci_u32 s10, s35, s5
	s_mul_i32 s30, s19, s31
	s_add_co_ci_u32 s31, s25, 0
	s_delay_alu instid0(SALU_CYCLE_1) | instskip(NEXT) | instid1(SALU_CYCLE_1)
	s_add_nc_u64 s[30:31], s[10:11], s[30:31]
	s_add_co_u32 s5, s18, s30
	s_cselect_b32 s10, -1, 0
	s_delay_alu instid0(SALU_CYCLE_1) | instskip(SKIP_2) | instid1(SALU_CYCLE_1)
	s_cmp_lg_u32 s10, 0
	s_add_co_ci_u32 s12, s19, s31
	s_ashr_i32 s18, s7, 31
	s_mov_b32 s19, s18
	s_delay_alu instid0(SALU_CYCLE_1) | instskip(NEXT) | instid1(SALU_CYCLE_1)
	s_add_nc_u64 s[30:31], s[6:7], s[18:19]
	s_xor_b64 s[30:31], s[30:31], s[18:19]
	s_delay_alu instid0(SALU_CYCLE_1)
	s_mul_hi_u32 s35, s30, s12
	s_mul_i32 s34, s30, s12
	s_mul_hi_u32 s10, s30, s5
	s_mul_hi_u32 s25, s31, s5
	s_mul_i32 s5, s31, s5
	s_add_nc_u64 s[34:35], s[10:11], s[34:35]
	s_mul_hi_u32 s7, s31, s12
	s_add_co_u32 s5, s34, s5
	s_add_co_ci_u32 s10, s35, s25
	s_mul_i32 s36, s31, s12
	s_add_co_ci_u32 s37, s7, 0
	s_delay_alu instid0(SALU_CYCLE_1) | instskip(NEXT) | instid1(SALU_CYCLE_1)
	s_add_nc_u64 s[34:35], s[10:11], s[36:37]
	s_and_b64 s[36:37], s[34:35], 0xffffffff00000000
	s_delay_alu instid0(SALU_CYCLE_1) | instskip(NEXT) | instid1(SALU_CYCLE_1)
	s_or_b32 s36, s36, s34
	s_mul_u64 s[34:35], s[16:17], s[36:37]
	s_add_nc_u64 s[38:39], s[36:37], 1
	s_sub_co_u32 s5, s30, s34
	s_cselect_b32 s7, -1, 0
	s_sub_co_i32 s10, s31, s35
	s_cmp_lg_u32 s7, 0
	s_add_nc_u64 s[40:41], s[36:37], 2
	s_sub_co_ci_u32 s10, s10, s17
	s_sub_co_u32 s12, s5, s16
	s_cselect_b32 s25, -1, 0
	s_delay_alu instid0(SALU_CYCLE_1) | instskip(SKIP_1) | instid1(SALU_CYCLE_1)
	s_cmp_lg_u32 s25, 0
	s_sub_co_ci_u32 s10, s10, 0
	s_cmp_ge_u32 s10, s17
	s_cselect_b32 s25, -1, 0
	s_cmp_ge_u32 s12, s16
	s_cselect_b32 s12, -1, 0
	s_cmp_eq_u32 s10, s17
	s_cselect_b32 s10, s12, s25
	s_delay_alu instid0(SALU_CYCLE_1) | instskip(SKIP_4) | instid1(SALU_CYCLE_1)
	s_cmp_lg_u32 s10, 0
	s_cselect_b32 s10, s40, s38
	s_cselect_b32 s12, s41, s39
	s_cmp_lg_u32 s7, 0
	s_sub_co_ci_u32 s7, s31, s35
	s_cmp_ge_u32 s7, s17
	s_cselect_b32 s25, -1, 0
	s_cmp_ge_u32 s5, s16
	s_cselect_b32 s5, -1, 0
	s_cmp_eq_u32 s7, s17
	s_cselect_b32 s5, s5, s25
	s_delay_alu instid0(SALU_CYCLE_1) | instskip(SKIP_3) | instid1(SALU_CYCLE_1)
	s_cmp_lg_u32 s5, 0
	s_cselect_b32 s17, s12, s37
	s_cselect_b32 s16, s10, s36
	s_xor_b64 s[8:9], s[18:19], s[8:9]
	s_xor_b64 s[16:17], s[16:17], s[8:9]
	s_delay_alu instid0(SALU_CYCLE_1)
	s_sub_nc_u64 s[30:31], s[16:17], s[8:9]
	s_load_b32 s27, s[0:1], 0x6c
	s_cbranch_execnz .LBB2_9
.LBB2_8:
	v_cvt_f32_u32_e32 v1, s4
	s_sub_co_i32 s7, 0, s4
	s_delay_alu instid0(VALU_DEP_1) | instskip(SKIP_1) | instid1(TRANS32_DEP_1)
	v_rcp_iflag_f32_e32 v1, v1
	v_nop
	v_mul_f32_e32 v1, 0x4f7ffffe, v1
	s_delay_alu instid0(VALU_DEP_1) | instskip(NEXT) | instid1(VALU_DEP_1)
	v_cvt_u32_f32_e32 v1, v1
	v_readfirstlane_b32 s5, v1
	s_mul_i32 s7, s7, s5
	s_delay_alu instid0(SALU_CYCLE_1) | instskip(NEXT) | instid1(SALU_CYCLE_1)
	s_mul_hi_u32 s7, s5, s7
	s_add_co_i32 s5, s5, s7
	s_delay_alu instid0(SALU_CYCLE_1) | instskip(NEXT) | instid1(SALU_CYCLE_1)
	s_mul_hi_u32 s5, s6, s5
	s_mul_i32 s7, s5, s4
	s_delay_alu instid0(SALU_CYCLE_1)
	s_sub_co_i32 s6, s6, s7
	s_add_co_i32 s7, s5, 1
	s_sub_co_i32 s8, s6, s4
	s_cmp_ge_u32 s6, s4
	s_cselect_b32 s5, s7, s5
	s_cselect_b32 s6, s8, s6
	s_add_co_i32 s7, s5, 1
	s_cmp_ge_u32 s6, s4
	s_cselect_b32 s30, s7, s5
.LBB2_9:
	s_bfe_u32 s4, ttmp6, 0x40010
	s_bfe_u32 s5, ttmp6, 0x40004
	s_add_co_i32 s4, s4, 1
	s_wait_kmcnt 0x0
	s_lshr_b32 s12, s27, 16
	s_mul_i32 s4, ttmp7, s4
	v_bfe_u32 v1, v0, 10, 10
	s_add_co_i32 s5, s5, s4
	s_cmp_eq_u32 s28, 0
	s_cselect_b32 s4, ttmp7, s5
	s_delay_alu instid0(VALU_DEP_1) | instid1(SALU_CYCLE_1)
	v_mad_u32 v2, s4, s12, v1
	s_mov_b32 s4, exec_lo
	s_delay_alu instid0(VALU_DEP_1)
	v_cmpx_gt_i32_e64 s20, v2
	s_cbranch_execz .LBB2_54
; %bb.10:
	s_clause 0x1
	s_load_b256 s[4:11], s[0:1], 0x28
	s_load_b128 s[16:19], s[0:1], 0x48
	s_bfe_i64 s[28:29], s[22:23], 0x200000
	s_wait_kmcnt 0x0
	s_or_b64 s[34:35], s[28:29], s[4:5]
	s_delay_alu instid0(SALU_CYCLE_1) | instskip(NEXT) | instid1(SALU_CYCLE_1)
	s_and_b64 s[34:35], s[34:35], 0xffffffff00000000
	s_cmp_lg_u64 s[34:35], 0
	s_cbranch_scc0 .LBB2_58
; %bb.11:
	s_ashr_i32 s34, s5, 31
	s_delay_alu instid0(SALU_CYCLE_1) | instskip(NEXT) | instid1(SALU_CYCLE_1)
	s_mov_b32 s35, s34
	s_add_nc_u64 s[36:37], s[4:5], s[34:35]
	s_delay_alu instid0(SALU_CYCLE_1) | instskip(SKIP_4) | instid1(SALU_CYCLE_2)
	s_xor_b64 s[38:39], s[36:37], s[34:35]
	s_mov_b32 s37, 0
	s_cvt_f32_u32 s23, s38
	s_cvt_f32_u32 s25, s39
	s_sub_nc_u64 s[42:43], 0, s[38:39]
	s_fmamk_f32 s23, s25, 0x4f800000, s23
	s_delay_alu instid0(SALU_CYCLE_3) | instskip(NEXT) | instid1(TRANS32_DEP_1)
	v_s_rcp_f32 s23, s23
	s_mul_f32 s23, s23, 0x5f7ffffc
	s_delay_alu instid0(SALU_CYCLE_3) | instskip(NEXT) | instid1(SALU_CYCLE_3)
	s_mul_f32 s25, s23, 0x2f800000
	s_trunc_f32 s25, s25
	s_delay_alu instid0(SALU_CYCLE_3) | instskip(SKIP_1) | instid1(SALU_CYCLE_2)
	s_fmamk_f32 s23, s25, 0xcf800000, s23
	s_cvt_u32_f32 s41, s25
	s_cvt_u32_f32 s40, s23
	s_delay_alu instid0(SALU_CYCLE_3) | instskip(NEXT) | instid1(SALU_CYCLE_1)
	s_mul_u64 s[44:45], s[42:43], s[40:41]
	s_mul_hi_u32 s47, s40, s45
	s_mul_i32 s46, s40, s45
	s_mul_hi_u32 s36, s40, s44
	s_mul_i32 s25, s41, s44
	s_add_nc_u64 s[46:47], s[36:37], s[46:47]
	s_mul_hi_u32 s23, s41, s44
	s_mul_hi_u32 s31, s41, s45
	s_add_co_u32 s25, s46, s25
	s_add_co_ci_u32 s36, s47, s23
	s_mul_i32 s44, s41, s45
	s_add_co_ci_u32 s45, s31, 0
	s_delay_alu instid0(SALU_CYCLE_1) | instskip(NEXT) | instid1(SALU_CYCLE_1)
	s_add_nc_u64 s[44:45], s[36:37], s[44:45]
	s_add_co_u32 s40, s40, s44
	s_cselect_b32 s23, -1, 0
	s_delay_alu instid0(SALU_CYCLE_1) | instskip(SKIP_1) | instid1(SALU_CYCLE_1)
	s_cmp_lg_u32 s23, 0
	s_add_co_ci_u32 s41, s41, s45
	s_mul_u64 s[42:43], s[42:43], s[40:41]
	s_delay_alu instid0(SALU_CYCLE_1)
	s_mul_hi_u32 s45, s40, s43
	s_mul_i32 s44, s40, s43
	s_mul_hi_u32 s36, s40, s42
	s_mul_i32 s25, s41, s42
	s_add_nc_u64 s[44:45], s[36:37], s[44:45]
	s_mul_hi_u32 s23, s41, s42
	s_mul_hi_u32 s31, s41, s43
	s_add_co_u32 s25, s44, s25
	s_add_co_ci_u32 s36, s45, s23
	s_mul_i32 s42, s41, s43
	s_add_co_ci_u32 s43, s31, 0
	s_delay_alu instid0(SALU_CYCLE_1) | instskip(NEXT) | instid1(SALU_CYCLE_1)
	s_add_nc_u64 s[42:43], s[36:37], s[42:43]
	s_add_co_u32 s23, s40, s42
	s_cselect_b32 s25, -1, 0
	s_delay_alu instid0(SALU_CYCLE_1) | instskip(SKIP_2) | instid1(SALU_CYCLE_1)
	s_cmp_lg_u32 s25, 0
	s_add_co_ci_u32 s25, s41, s43
	s_ashr_i32 s40, s29, 31
	s_mov_b32 s41, s40
	s_delay_alu instid0(SALU_CYCLE_1) | instskip(NEXT) | instid1(SALU_CYCLE_1)
	s_add_nc_u64 s[42:43], s[28:29], s[40:41]
	s_xor_b64 s[42:43], s[42:43], s[40:41]
	s_delay_alu instid0(SALU_CYCLE_1)
	s_mul_hi_u32 s45, s42, s25
	s_mul_i32 s44, s42, s25
	s_mul_hi_u32 s36, s42, s23
	s_mul_hi_u32 s33, s43, s23
	s_mul_i32 s23, s43, s23
	s_add_nc_u64 s[44:45], s[36:37], s[44:45]
	s_mul_hi_u32 s31, s43, s25
	s_add_co_u32 s23, s44, s23
	s_add_co_ci_u32 s36, s45, s33
	s_mul_i32 s46, s43, s25
	s_add_co_ci_u32 s47, s31, 0
	s_delay_alu instid0(SALU_CYCLE_1) | instskip(NEXT) | instid1(SALU_CYCLE_1)
	s_add_nc_u64 s[44:45], s[36:37], s[46:47]
	s_and_b64 s[46:47], s[44:45], 0xffffffff00000000
	s_delay_alu instid0(SALU_CYCLE_1) | instskip(NEXT) | instid1(SALU_CYCLE_1)
	s_or_b32 s46, s46, s44
	s_mul_u64 s[44:45], s[38:39], s[46:47]
	s_add_nc_u64 s[48:49], s[46:47], 1
	s_sub_co_u32 s23, s42, s44
	s_cselect_b32 s25, -1, 0
	s_sub_co_i32 s31, s43, s45
	s_cmp_lg_u32 s25, 0
	s_add_nc_u64 s[50:51], s[46:47], 2
	s_sub_co_ci_u32 s31, s31, s39
	s_sub_co_u32 s33, s23, s38
	s_cselect_b32 s36, -1, 0
	s_delay_alu instid0(SALU_CYCLE_1) | instskip(SKIP_1) | instid1(SALU_CYCLE_1)
	s_cmp_lg_u32 s36, 0
	s_sub_co_ci_u32 s31, s31, 0
	s_cmp_ge_u32 s31, s39
	s_cselect_b32 s36, -1, 0
	s_cmp_ge_u32 s33, s38
	s_cselect_b32 s33, -1, 0
	s_cmp_eq_u32 s31, s39
	s_cselect_b32 s31, s33, s36
	s_delay_alu instid0(SALU_CYCLE_1) | instskip(SKIP_4) | instid1(SALU_CYCLE_1)
	s_cmp_lg_u32 s31, 0
	s_cselect_b32 s31, s50, s48
	s_cselect_b32 s33, s51, s49
	s_cmp_lg_u32 s25, 0
	s_sub_co_ci_u32 s25, s43, s45
	s_cmp_ge_u32 s25, s39
	s_cselect_b32 s36, -1, 0
	s_cmp_ge_u32 s23, s38
	s_cselect_b32 s23, -1, 0
	s_cmp_eq_u32 s25, s39
	s_cselect_b32 s23, s23, s36
	s_delay_alu instid0(SALU_CYCLE_1) | instskip(SKIP_3) | instid1(SALU_CYCLE_1)
	s_cmp_lg_u32 s23, 0
	s_cselect_b32 s39, s33, s47
	s_cselect_b32 s38, s31, s46
	s_xor_b64 s[34:35], s[40:41], s[34:35]
	s_xor_b64 s[38:39], s[38:39], s[34:35]
	s_delay_alu instid0(SALU_CYCLE_1)
	s_sub_nc_u64 s[34:35], s[38:39], s[34:35]
	s_load_b32 s41, s[0:1], 0x64
	s_cbranch_execnz .LBB2_13
.LBB2_12:
	v_cvt_f32_u32_e32 v1, s4
	s_sub_co_i32 s25, 0, s4
	s_mov_b32 s35, 0
	s_delay_alu instid0(VALU_DEP_1) | instskip(SKIP_1) | instid1(TRANS32_DEP_1)
	v_rcp_iflag_f32_e32 v1, v1
	v_nop
	v_mul_f32_e32 v1, 0x4f7ffffe, v1
	s_delay_alu instid0(VALU_DEP_1) | instskip(NEXT) | instid1(VALU_DEP_1)
	v_cvt_u32_f32_e32 v1, v1
	v_readfirstlane_b32 s23, v1
	s_mul_i32 s25, s25, s23
	s_delay_alu instid0(SALU_CYCLE_1) | instskip(NEXT) | instid1(SALU_CYCLE_1)
	s_mul_hi_u32 s25, s23, s25
	s_add_co_i32 s23, s23, s25
	s_delay_alu instid0(SALU_CYCLE_1) | instskip(NEXT) | instid1(SALU_CYCLE_1)
	s_mul_hi_u32 s23, s22, s23
	s_mul_i32 s25, s23, s4
	s_delay_alu instid0(SALU_CYCLE_1)
	s_sub_co_i32 s22, s22, s25
	s_add_co_i32 s25, s23, 1
	s_sub_co_i32 s31, s22, s4
	s_cmp_ge_u32 s22, s4
	s_cselect_b32 s23, s25, s23
	s_cselect_b32 s22, s31, s22
	s_add_co_i32 s25, s23, 1
	s_cmp_ge_u32 s22, s4
	s_cselect_b32 s34, s25, s23
.LBB2_13:
	s_mul_i32 s15, s15, s24
	s_ashr_i32 s23, s20, 31
	s_mov_b32 s22, s20
	s_ashr_i32 s25, s21, 31
	s_mov_b32 s24, s21
	s_add_co_i32 s33, s26, s15
	s_mul_u64 s[36:37], s[24:25], s[22:23]
	s_sub_co_i32 s15, s30, s33
	s_mul_u64 s[2:3], s[36:37], s[2:3]
	s_add_co_i32 s36, s15, 1
	s_lshl_b64 s[2:3], s[2:3], 1
	s_and_b32 s37, s27, 0xffff
	s_ashr_i32 s27, s13, 31
	s_ashr_i32 s15, s14, 31
	s_cmp_gt_i32 s36, 0
	v_cvt_f32_u32_e32 v1, s22
	s_cselect_b32 s38, -1, 0
	s_ashr_i32 s39, s20, 31
	s_load_b128 s[44:47], s[0:1], 0x0
	s_add_co_i32 s26, s20, s39
	v_rcp_iflag_f32_e32 v1, v1
	s_xor_b32 s40, s26, s39
	s_sub_co_i32 s26, 0, s20
	v_cvt_f32_u32_e32 v3, s40
	s_sub_co_i32 s30, 0, s40
	v_and_b32_e32 v14, 0x3ff, v0
	s_wait_xcnt 0x0
	s_mul_u64 s[0:1], s[34:35], s[4:5]
	v_mul_f32_e32 v1, 0x4f7ffffe, v1
	v_rcp_iflag_f32_e32 v3, v3
	s_sub_nc_u64 s[0:1], s[28:29], s[0:1]
	s_bfe_i64 s[28:29], s[34:35], 0x200000
	s_mul_u64 s[8:9], s[0:1], s[8:9]
	v_cvt_u32_f32_e32 v4, v1
	s_mul_u64 s[6:7], s[28:29], s[6:7]
	v_cmp_gt_i32_e64 s0, s21, v14
	v_mul_f32_e32 v3, 0x4f7ffffe, v3
	s_lshl_b64 s[28:29], s[6:7], 1
	v_mul_lo_u32 v5, s26, v4
	s_lshl_b64 s[8:9], s[8:9], 1
	s_wait_kmcnt 0x0
	s_add_nc_u64 s[6:7], s[46:47], s[2:3]
	v_cvt_u32_f32_e32 v3, v3
	s_add_nc_u64 s[2:3], s[44:45], s[28:29]
	s_mul_i32 s41, s41, s12
	s_mov_b32 s26, s13
	s_mov_b32 s4, 0
	v_mul_lo_u32 v6, s30, v3
	s_mov_b64 s[12:13], 0xffffffff
	s_add_nc_u64 s[8:9], s[2:3], s[8:9]
	v_mul_hi_u32 v0, v4, v5
	s_ashr_i32 s28, s23, 31
	s_mov_b32 s42, 0
	s_delay_alu instid0(VALU_DEP_2) | instskip(NEXT) | instid1(VALU_DEP_2)
	v_mul_hi_u32 v5, v3, v6
	v_dual_mov_b32 v1, 0 :: v_dual_add_nc_u32 v16, v4, v0
	s_delay_alu instid0(VALU_DEP_2)
	v_add_nc_u32_e32 v15, v3, v5
	s_branch .LBB2_15
.LBB2_14:                               ;   in Loop: Header=BB2_15 Depth=1
	s_or_b32 exec_lo, exec_lo, s3
	v_add_nc_u32_e32 v2, s41, v2
	s_delay_alu instid0(VALU_DEP_1) | instskip(SKIP_1) | instid1(SALU_CYCLE_1)
	v_cmp_le_i32_e32 vcc_lo, s20, v2
	s_or_b32 s42, vcc_lo, s42
	s_and_not1_b32 exec_lo, exec_lo, s42
	s_cbranch_execz .LBB2_54
.LBB2_15:                               ; =>This Loop Header: Depth=1
                                        ;     Child Loop BB2_31 Depth 2
                                        ;       Child Loop BB2_47 Depth 3
                                        ;         Child Loop BB2_50 Depth 4
                                        ;           Child Loop BB2_52 Depth 5
	s_delay_alu instid0(VALU_DEP_2) | instskip(NEXT) | instid1(VALU_DEP_1)
	v_dual_mov_b32 v4, v1 :: v_dual_ashrrev_i32 v3, 31, v2
	v_or_b32_e32 v5, s23, v3
	s_delay_alu instid0(VALU_DEP_1) | instskip(SKIP_1) | instid1(SALU_CYCLE_1)
	v_cmp_ne_u64_e32 vcc_lo, 0, v[4:5]
                                        ; implicit-def: $vgpr4_vgpr5
	s_and_saveexec_b32 s1, vcc_lo
	s_xor_b32 s1, exec_lo, s1
	s_cbranch_execz .LBB2_17
; %bb.16:                               ;   in Loop: Header=BB2_15 Depth=1
	v_ashrrev_i32_e32 v0, 31, v2
	s_delay_alu instid0(VALU_DEP_1) | instskip(NEXT) | instid1(VALU_DEP_1)
	v_add_nc_u32_e32 v4, v2, v0
	v_xor_b32_e32 v4, v4, v0
	s_delay_alu instid0(VALU_DEP_1) | instskip(NEXT) | instid1(VALU_DEP_1)
	v_mul_hi_u32 v5, v4, v15
	v_mul_lo_u32 v6, v5, s40
	s_delay_alu instid0(VALU_DEP_1) | instskip(SKIP_1) | instid1(VALU_DEP_2)
	v_dual_sub_nc_u32 v4, v4, v6 :: v_dual_add_nc_u32 v6, 1, v5
	v_xor_b32_e32 v0, s39, v0
	v_subrev_nc_u32_e32 v7, s40, v4
	v_cmp_le_u32_e32 vcc_lo, s40, v4
	s_delay_alu instid0(VALU_DEP_2) | instskip(NEXT) | instid1(VALU_DEP_1)
	v_dual_cndmask_b32 v4, v4, v7 :: v_dual_cndmask_b32 v5, v5, v6
	v_cmp_le_u32_e32 vcc_lo, s40, v4
	s_delay_alu instid0(VALU_DEP_2) | instskip(NEXT) | instid1(VALU_DEP_1)
	v_add_nc_u32_e32 v6, 1, v5
	v_cndmask_b32_e32 v4, v5, v6, vcc_lo
	s_delay_alu instid0(VALU_DEP_1) | instskip(NEXT) | instid1(VALU_DEP_1)
	v_xor_b32_e32 v4, v4, v0
	v_sub_nc_u32_e32 v4, v4, v0
	s_delay_alu instid0(VALU_DEP_1)
	v_ashrrev_i32_e32 v5, 31, v4
.LBB2_17:                               ;   in Loop: Header=BB2_15 Depth=1
	s_and_not1_saveexec_b32 s1, s1
	s_cbranch_execz .LBB2_19
; %bb.18:                               ;   in Loop: Header=BB2_15 Depth=1
	v_mul_hi_u32 v0, v2, v16
	s_delay_alu instid0(VALU_DEP_1) | instskip(SKIP_1) | instid1(VALU_DEP_2)
	v_mul_lo_u32 v4, v0, s22
	v_add_nc_u32_e32 v5, 1, v0
	v_sub_nc_u32_e32 v4, v2, v4
	s_delay_alu instid0(VALU_DEP_1) | instskip(NEXT) | instid1(VALU_DEP_3)
	v_cmp_le_u32_e32 vcc_lo, s22, v4
	v_cndmask_b32_e32 v0, v0, v5, vcc_lo
	v_subrev_nc_u32_e32 v6, s22, v4
	s_delay_alu instid0(VALU_DEP_1) | instskip(NEXT) | instid1(VALU_DEP_1)
	v_dual_cndmask_b32 v4, v4, v6 :: v_dual_add_nc_u32 v5, 1, v0
	v_cmp_le_u32_e32 vcc_lo, s22, v4
	s_delay_alu instid0(VALU_DEP_2) | instskip(NEXT) | instid1(VALU_DEP_1)
	v_cndmask_b32_e32 v0, v0, v5, vcc_lo
	v_mov_b64_e32 v[4:5], v[0:1]
.LBB2_19:                               ;   in Loop: Header=BB2_15 Depth=1
	s_or_b32 exec_lo, exec_lo, s1
	s_delay_alu instid0(VALU_DEP_1) | instskip(NEXT) | instid1(VALU_DEP_1)
	v_mul_u64_e32 v[6:7], s[22:23], v[4:5]
	v_sub_nc_u64_e32 v[6:7], v[2:3], v[6:7]
	s_delay_alu instid0(VALU_DEP_1) | instskip(NEXT) | instid1(VALU_DEP_1)
	v_mul_u64_e32 v[8:9], s[26:27], v[6:7]
	v_dual_mov_b32 v6, v1 :: v_dual_bitop2_b32 v7, s23, v9 bitop3:0x54
	s_delay_alu instid0(VALU_DEP_1) | instskip(SKIP_1) | instid1(SALU_CYCLE_1)
	v_cmp_ne_u64_e32 vcc_lo, 0, v[6:7]
                                        ; implicit-def: $vgpr6_vgpr7
	s_and_saveexec_b32 s1, vcc_lo
	s_xor_b32 s5, exec_lo, s1
	s_cbranch_execz .LBB2_21
; %bb.20:                               ;   in Loop: Header=BB2_15 Depth=1
	s_mov_b32 s29, s28
	s_mov_b32 s45, s4
	s_add_nc_u64 s[2:3], s[22:23], s[28:29]
	s_mov_b32 s49, s4
	s_xor_b64 s[2:3], s[2:3], s[28:29]
	v_dual_mov_b32 v13, v1 :: v_dual_ashrrev_i32 v6, 31, v9
	s_cvt_f32_u32 s1, s2
	s_cvt_f32_u32 s29, s3
	s_sub_nc_u64 s[34:35], 0, s[2:3]
	s_delay_alu instid0(VALU_DEP_1) | instskip(NEXT) | instid1(SALU_CYCLE_1)
	v_mov_b32_e32 v7, v6
	s_fmamk_f32 s1, s29, 0x4f800000, s1
	s_delay_alu instid0(VALU_DEP_1) | instskip(NEXT) | instid1(SALU_CYCLE_2)
	v_add_nc_u64_e32 v[8:9], v[8:9], v[6:7]
	v_s_rcp_f32 s1, s1
	s_delay_alu instid0(VALU_DEP_1) | instskip(NEXT) | instid1(VALU_DEP_2)
	v_xor_b32_e32 v0, v8, v6
	v_xor_b32_e32 v12, v9, v6
	s_delay_alu instid0(TRANS32_DEP_1) | instskip(SKIP_1) | instid1(SALU_CYCLE_2)
	s_mul_f32 s1, s1, 0x5f7ffffc
	v_mov_b32_e32 v21, v1
	s_mul_f32 s29, s1, 0x2f800000
	s_delay_alu instid0(SALU_CYCLE_3) | instskip(NEXT) | instid1(SALU_CYCLE_3)
	s_trunc_f32 s29, s29
	s_fmamk_f32 s1, s29, 0xcf800000, s1
	s_cvt_u32_f32 s31, s29
	s_delay_alu instid0(SALU_CYCLE_2) | instskip(NEXT) | instid1(SALU_CYCLE_3)
	s_cvt_u32_f32 s30, s1
	s_mul_u64 s[46:47], s[34:35], s[30:31]
	s_delay_alu instid0(SALU_CYCLE_1)
	s_mul_hi_u32 s51, s30, s47
	s_mul_i32 s50, s30, s47
	s_mul_hi_u32 s44, s30, s46
	s_mul_i32 s29, s31, s46
	s_add_nc_u64 s[44:45], s[44:45], s[50:51]
	s_mul_hi_u32 s1, s31, s46
	s_mul_hi_u32 s43, s31, s47
	s_add_co_u32 s29, s44, s29
	s_add_co_ci_u32 s48, s45, s1
	s_mul_i32 s46, s31, s47
	s_add_co_ci_u32 s47, s43, 0
	s_delay_alu instid0(SALU_CYCLE_1) | instskip(SKIP_3) | instid1(SALU_CYCLE_1)
	s_add_nc_u64 s[44:45], s[48:49], s[46:47]
	s_mov_b32 s47, s4
	s_add_co_u32 s30, s30, s44
	s_cselect_b32 s1, -1, 0
	s_cmp_lg_u32 s1, 0
	s_add_co_ci_u32 s31, s31, s45
	s_mov_b32 s45, s4
	s_mul_u64 s[34:35], s[34:35], s[30:31]
	s_delay_alu instid0(SALU_CYCLE_1)
	s_mul_hi_u32 s49, s30, s35
	s_mul_i32 s48, s30, s35
	s_mul_hi_u32 s46, s30, s34
	s_mul_i32 s29, s31, s34
	s_add_nc_u64 s[46:47], s[46:47], s[48:49]
	s_mul_hi_u32 s1, s31, s34
	s_mul_hi_u32 s43, s31, s35
	s_add_co_u32 s29, s46, s29
	s_add_co_ci_u32 s44, s47, s1
	s_mul_i32 s34, s31, s35
	s_add_co_ci_u32 s35, s43, 0
	s_delay_alu instid0(SALU_CYCLE_1) | instskip(NEXT) | instid1(SALU_CYCLE_1)
	s_add_nc_u64 s[34:35], s[44:45], s[34:35]
	s_add_co_u32 s30, s30, s34
	s_cselect_b32 s1, -1, 0
	v_mul_hi_u32 v20, v0, s30
	s_cmp_lg_u32 s1, 0
	s_add_co_ci_u32 s44, s31, s35
	s_and_b64 s[34:35], s[30:31], s[12:13]
	v_mul_u64_e32 v[10:11], s[44:45], v[0:1]
	v_mul_u64_e32 v[8:9], s[34:35], v[12:13]
	;; [unrolled: 1-line block ×3, first 2 shown]
	s_delay_alu instid0(VALU_DEP_3) | instskip(NEXT) | instid1(VALU_DEP_1)
	v_add_nc_u64_e32 v[10:11], v[20:21], v[10:11]
	v_add_co_u32 v5, vcc_lo, v10, v8
	s_delay_alu instid0(VALU_DEP_2) | instskip(NEXT) | instid1(VALU_DEP_4)
	v_add_co_ci_u32_e32 v20, vcc_lo, v11, v9, vcc_lo
	v_add_co_ci_u32_e32 v19, vcc_lo, 0, v19, vcc_lo
	s_delay_alu instid0(VALU_DEP_1) | instskip(NEXT) | instid1(VALU_DEP_1)
	v_add_nc_u64_e32 v[8:9], v[20:21], v[18:19]
	v_mul_u64_e32 v[10:11], s[2:3], v[8:9]
	s_delay_alu instid0(VALU_DEP_1) | instskip(NEXT) | instid1(VALU_DEP_2)
	v_sub_nc_u32_e32 v5, v12, v11
	v_sub_co_u32 v0, vcc_lo, v0, v10
	s_delay_alu instid0(VALU_DEP_1) | instskip(NEXT) | instid1(VALU_DEP_3)
	v_sub_co_ci_u32_e64 v17, null, v12, v11, vcc_lo
	v_subrev_co_ci_u32_e64 v5, null, s3, v5, vcc_lo
	s_delay_alu instid0(VALU_DEP_3) | instskip(SKIP_1) | instid1(VALU_DEP_3)
	v_sub_co_u32 v7, s1, v0, s2
	v_add_nc_u64_e32 v[12:13], 1, v[8:9]
	v_subrev_co_ci_u32_e64 v5, null, 0, v5, s1
	s_delay_alu instid0(VALU_DEP_3) | instskip(SKIP_1) | instid1(VALU_DEP_3)
	v_cmp_le_u32_e32 vcc_lo, s2, v7
	v_cndmask_b32_e64 v7, 0, -1, vcc_lo
	v_cmp_le_u32_e32 vcc_lo, s3, v5
	v_cndmask_b32_e64 v10, 0, -1, vcc_lo
	;; [unrolled: 2-line block ×4, first 2 shown]
	v_cmp_eq_u32_e32 vcc_lo, s3, v5
	v_cndmask_b32_e32 v5, v10, v7, vcc_lo
	v_cmp_eq_u32_e32 vcc_lo, s3, v17
	v_add_nc_u64_e32 v[10:11], 2, v[8:9]
	v_cndmask_b32_e32 v0, v18, v0, vcc_lo
	s_delay_alu instid0(VALU_DEP_4) | instskip(NEXT) | instid1(VALU_DEP_3)
	v_cmp_ne_u32_e32 vcc_lo, 0, v5
	v_cndmask_b32_e32 v5, v13, v11, vcc_lo
	s_delay_alu instid0(VALU_DEP_3) | instskip(NEXT) | instid1(VALU_DEP_1)
	v_cmp_ne_u32_e64 s1, 0, v0
	v_dual_cndmask_b32 v0, v12, v10, vcc_lo :: v_dual_cndmask_b32 v5, v9, v5, s1
	s_delay_alu instid0(VALU_DEP_1) | instskip(NEXT) | instid1(VALU_DEP_1)
	v_dual_cndmask_b32 v0, v8, v0, s1 :: v_dual_bitop2_b32 v6, s28, v6 bitop3:0x14
	v_dual_mov_b32 v7, v6 :: v_dual_bitop2_b32 v9, v5, v6 bitop3:0x14
	s_delay_alu instid0(VALU_DEP_2) | instskip(NEXT) | instid1(VALU_DEP_1)
	v_xor_b32_e32 v8, v0, v6
	v_sub_nc_u64_e32 v[6:7], v[8:9], v[6:7]
                                        ; implicit-def: $vgpr8_vgpr9
.LBB2_21:                               ;   in Loop: Header=BB2_15 Depth=1
	s_and_not1_saveexec_b32 s1, s5
	s_cbranch_execz .LBB2_23
; %bb.22:                               ;   in Loop: Header=BB2_15 Depth=1
	s_delay_alu instid0(VALU_DEP_3) | instskip(NEXT) | instid1(VALU_DEP_1)
	v_mul_hi_u32 v0, v8, v16
	v_mul_lo_u32 v5, v0, s22
	s_delay_alu instid0(VALU_DEP_1) | instskip(NEXT) | instid1(VALU_DEP_1)
	v_dual_add_nc_u32 v6, 1, v0 :: v_dual_sub_nc_u32 v5, v8, v5
	v_subrev_nc_u32_e32 v7, s22, v5
	v_cmp_le_u32_e32 vcc_lo, s22, v5
	s_delay_alu instid0(VALU_DEP_2) | instskip(NEXT) | instid1(VALU_DEP_1)
	v_dual_cndmask_b32 v5, v5, v7 :: v_dual_cndmask_b32 v0, v0, v6
	v_cmp_le_u32_e32 vcc_lo, s22, v5
	s_delay_alu instid0(VALU_DEP_2) | instskip(NEXT) | instid1(VALU_DEP_1)
	v_add_nc_u32_e32 v6, 1, v0
	v_cndmask_b32_e32 v6, v0, v6, vcc_lo
.LBB2_23:                               ;   in Loop: Header=BB2_15 Depth=1
	s_or_b32 exec_lo, exec_lo, s1
	v_add_nc_u64_e32 v[10:11], 1, v[2:3]
	s_delay_alu instid0(VALU_DEP_1) | instskip(NEXT) | instid1(VALU_DEP_1)
	v_mad_nc_u64_u32 v[8:9], v10, s26, -1
	v_mad_u32 v0, v11, s26, v9
	s_delay_alu instid0(VALU_DEP_1) | instskip(NEXT) | instid1(VALU_DEP_1)
	v_mad_u32 v9, v10, s27, v0
	v_dual_mov_b32 v10, v1 :: v_dual_bitop2_b32 v11, s23, v9 bitop3:0x54
	s_delay_alu instid0(VALU_DEP_1) | instskip(SKIP_1) | instid1(SALU_CYCLE_1)
	v_cmp_ne_u64_e32 vcc_lo, 0, v[10:11]
                                        ; implicit-def: $vgpr10_vgpr11
	s_and_saveexec_b32 s1, vcc_lo
	s_xor_b32 s5, exec_lo, s1
	s_cbranch_execnz .LBB2_26
; %bb.24:                               ;   in Loop: Header=BB2_15 Depth=1
	s_and_not1_saveexec_b32 s1, s5
	s_cbranch_execnz .LBB2_27
.LBB2_25:                               ;   in Loop: Header=BB2_15 Depth=1
	s_or_b32 exec_lo, exec_lo, s1
	s_and_saveexec_b32 s3, s0
	s_cbranch_execz .LBB2_14
	s_branch .LBB2_28
.LBB2_26:                               ;   in Loop: Header=BB2_15 Depth=1
	s_mov_b32 s29, s28
	s_mov_b32 s45, s4
	s_add_nc_u64 s[2:3], s[22:23], s[28:29]
	s_mov_b32 s49, s4
	s_xor_b64 s[2:3], s[2:3], s[28:29]
	v_dual_mov_b32 v19, v1 :: v_dual_ashrrev_i32 v10, 31, v9
	s_cvt_f32_u32 s1, s2
	s_cvt_f32_u32 s29, s3
	s_sub_nc_u64 s[34:35], 0, s[2:3]
	s_delay_alu instid0(VALU_DEP_1) | instskip(NEXT) | instid1(SALU_CYCLE_1)
	v_mov_b32_e32 v11, v10
	s_fmamk_f32 s1, s29, 0x4f800000, s1
	s_delay_alu instid0(VALU_DEP_1) | instskip(NEXT) | instid1(SALU_CYCLE_2)
	v_add_nc_u64_e32 v[8:9], v[8:9], v[10:11]
	v_s_rcp_f32 s1, s1
	s_delay_alu instid0(VALU_DEP_1) | instskip(NEXT) | instid1(VALU_DEP_2)
	v_xor_b32_e32 v0, v8, v10
	v_xor_b32_e32 v18, v9, v10
	s_delay_alu instid0(TRANS32_DEP_1) | instskip(SKIP_1) | instid1(SALU_CYCLE_2)
	s_mul_f32 s1, s1, 0x5f7ffffc
	v_dual_mov_b32 v23, v1 :: v_dual_bitop2_b32 v10, s28, v10 bitop3:0x14
	s_mul_f32 s29, s1, 0x2f800000
	s_delay_alu instid0(SALU_CYCLE_3) | instskip(NEXT) | instid1(SALU_CYCLE_3)
	s_trunc_f32 s29, s29
	s_fmamk_f32 s1, s29, 0xcf800000, s1
	s_cvt_u32_f32 s31, s29
	s_delay_alu instid0(SALU_CYCLE_2) | instskip(NEXT) | instid1(SALU_CYCLE_3)
	s_cvt_u32_f32 s30, s1
	s_mul_u64 s[46:47], s[34:35], s[30:31]
	s_delay_alu instid0(SALU_CYCLE_1)
	s_mul_hi_u32 s51, s30, s47
	s_mul_i32 s50, s30, s47
	s_mul_hi_u32 s44, s30, s46
	s_mul_i32 s29, s31, s46
	s_add_nc_u64 s[44:45], s[44:45], s[50:51]
	s_mul_hi_u32 s1, s31, s46
	s_mul_hi_u32 s43, s31, s47
	s_add_co_u32 s29, s44, s29
	s_add_co_ci_u32 s48, s45, s1
	s_mul_i32 s46, s31, s47
	s_add_co_ci_u32 s47, s43, 0
	s_delay_alu instid0(SALU_CYCLE_1) | instskip(SKIP_3) | instid1(SALU_CYCLE_1)
	s_add_nc_u64 s[44:45], s[48:49], s[46:47]
	s_mov_b32 s47, s4
	s_add_co_u32 s30, s30, s44
	s_cselect_b32 s1, -1, 0
	s_cmp_lg_u32 s1, 0
	s_add_co_ci_u32 s31, s31, s45
	s_mov_b32 s45, s4
	s_mul_u64 s[34:35], s[34:35], s[30:31]
	s_delay_alu instid0(SALU_CYCLE_1)
	s_mul_hi_u32 s49, s30, s35
	s_mul_i32 s48, s30, s35
	s_mul_hi_u32 s46, s30, s34
	s_mul_i32 s29, s31, s34
	s_add_nc_u64 s[46:47], s[46:47], s[48:49]
	s_mul_hi_u32 s1, s31, s34
	s_mul_hi_u32 s43, s31, s35
	s_add_co_u32 s29, s46, s29
	s_add_co_ci_u32 s44, s47, s1
	s_mul_i32 s34, s31, s35
	s_add_co_ci_u32 s35, s43, 0
	s_delay_alu instid0(SALU_CYCLE_1) | instskip(NEXT) | instid1(SALU_CYCLE_1)
	s_add_nc_u64 s[34:35], s[44:45], s[34:35]
	s_add_co_u32 s30, s30, s34
	s_cselect_b32 s1, -1, 0
	v_mul_hi_u32 v22, v0, s30
	s_cmp_lg_u32 s1, 0
	s_add_co_ci_u32 s44, s31, s35
	s_and_b64 s[34:35], s[30:31], s[12:13]
	v_mul_u64_e32 v[12:13], s[44:45], v[0:1]
	v_mul_u64_e32 v[8:9], s[34:35], v[18:19]
	;; [unrolled: 1-line block ×3, first 2 shown]
	s_delay_alu instid0(VALU_DEP_3) | instskip(NEXT) | instid1(VALU_DEP_1)
	v_add_nc_u64_e32 v[12:13], v[22:23], v[12:13]
	v_add_co_u32 v3, vcc_lo, v12, v8
	s_delay_alu instid0(VALU_DEP_2) | instskip(NEXT) | instid1(VALU_DEP_4)
	v_add_co_ci_u32_e32 v22, vcc_lo, v13, v9, vcc_lo
	v_add_co_ci_u32_e32 v21, vcc_lo, 0, v21, vcc_lo
	s_delay_alu instid0(VALU_DEP_1) | instskip(NEXT) | instid1(VALU_DEP_1)
	v_add_nc_u64_e32 v[8:9], v[22:23], v[20:21]
	v_mul_u64_e32 v[12:13], s[2:3], v[8:9]
	s_delay_alu instid0(VALU_DEP_1) | instskip(NEXT) | instid1(VALU_DEP_2)
	v_sub_nc_u32_e32 v3, v18, v13
	v_sub_co_u32 v0, vcc_lo, v0, v12
	s_delay_alu instid0(VALU_DEP_1) | instskip(NEXT) | instid1(VALU_DEP_3)
	v_sub_co_ci_u32_e64 v7, null, v18, v13, vcc_lo
	v_subrev_co_ci_u32_e64 v3, null, s3, v3, vcc_lo
	s_delay_alu instid0(VALU_DEP_3) | instskip(SKIP_1) | instid1(VALU_DEP_3)
	v_sub_co_u32 v5, s1, v0, s2
	v_add_nc_u64_e32 v[12:13], 2, v[8:9]
	v_subrev_co_ci_u32_e64 v3, null, 0, v3, s1
	s_delay_alu instid0(VALU_DEP_3) | instskip(SKIP_2) | instid1(VALU_DEP_4)
	v_cmp_le_u32_e32 vcc_lo, s2, v5
	v_add_nc_u64_e32 v[18:19], 1, v[8:9]
	v_cndmask_b32_e64 v5, 0, -1, vcc_lo
	v_cmp_le_u32_e32 vcc_lo, s3, v3
	v_cndmask_b32_e64 v11, 0, -1, vcc_lo
	v_cmp_le_u32_e32 vcc_lo, s2, v0
	;; [unrolled: 2-line block ×3, first 2 shown]
	v_cndmask_b32_e64 v17, 0, -1, vcc_lo
	v_cmp_eq_u32_e32 vcc_lo, s3, v3
	v_cndmask_b32_e32 v3, v11, v5, vcc_lo
	v_cmp_eq_u32_e32 vcc_lo, s3, v7
	s_delay_alu instid0(VALU_DEP_4) | instskip(NEXT) | instid1(VALU_DEP_3)
	v_cndmask_b32_e32 v0, v17, v0, vcc_lo
	v_cmp_ne_u32_e32 vcc_lo, 0, v3
	v_cndmask_b32_e32 v3, v19, v13, vcc_lo
	s_delay_alu instid0(VALU_DEP_3) | instskip(NEXT) | instid1(VALU_DEP_1)
	v_cmp_ne_u32_e64 s1, 0, v0
	v_dual_cndmask_b32 v0, v18, v12, vcc_lo :: v_dual_cndmask_b32 v3, v9, v3, s1
	s_delay_alu instid0(VALU_DEP_1) | instskip(NEXT) | instid1(VALU_DEP_2)
	v_dual_cndmask_b32 v0, v8, v0, s1 :: v_dual_mov_b32 v11, v10
	v_xor_b32_e32 v9, v3, v10
	s_delay_alu instid0(VALU_DEP_2) | instskip(NEXT) | instid1(VALU_DEP_1)
	v_xor_b32_e32 v8, v0, v10
	v_sub_nc_u64_e32 v[10:11], v[8:9], v[10:11]
                                        ; implicit-def: $vgpr8_vgpr9
	s_and_not1_saveexec_b32 s1, s5
	s_cbranch_execz .LBB2_25
.LBB2_27:                               ;   in Loop: Header=BB2_15 Depth=1
	v_mul_hi_u32 v0, v8, v16
	s_delay_alu instid0(VALU_DEP_1) | instskip(NEXT) | instid1(VALU_DEP_1)
	v_mul_lo_u32 v3, v0, s22
	v_dual_add_nc_u32 v5, 1, v0 :: v_dual_sub_nc_u32 v3, v8, v3
	s_delay_alu instid0(VALU_DEP_1) | instskip(SKIP_1) | instid1(VALU_DEP_2)
	v_subrev_nc_u32_e32 v7, s22, v3
	v_cmp_le_u32_e32 vcc_lo, s22, v3
	v_dual_cndmask_b32 v3, v3, v7 :: v_dual_cndmask_b32 v0, v0, v5
	s_delay_alu instid0(VALU_DEP_1) | instskip(NEXT) | instid1(VALU_DEP_2)
	v_cmp_le_u32_e32 vcc_lo, s22, v3
	v_add_nc_u32_e32 v5, 1, v0
	s_delay_alu instid0(VALU_DEP_1)
	v_cndmask_b32_e32 v10, v0, v5, vcc_lo
	s_or_b32 exec_lo, exec_lo, s1
	s_and_saveexec_b32 s3, s0
	s_cbranch_execz .LBB2_14
.LBB2_28:                               ;   in Loop: Header=BB2_15 Depth=1
	v_mad_u32 v3, v4, s26, v6
	v_mul_lo_u32 v4, v2, s21
	s_mov_b32 s29, 0
	s_delay_alu instid0(VALU_DEP_1) | instskip(NEXT) | instid1(VALU_DEP_1)
	v_dual_sub_nc_u32 v0, v10, v3 :: v_dual_ashrrev_i32 v5, 31, v4
	v_dual_mov_b32 v0, v14 :: v_dual_add_nc_u32 v17, 1, v0
	s_delay_alu instid0(VALU_DEP_2) | instskip(NEXT) | instid1(VALU_DEP_2)
	v_lshl_add_u64 v[4:5], v[4:5], 1, s[6:7]
	v_mul_lo_u32 v18, v17, s36
	v_cmp_lt_i32_e64 s1, 0, v17
	s_branch .LBB2_31
.LBB2_29:                               ;   in Loop: Header=BB2_31 Depth=2
	v_mov_b32_e32 v8, 0
.LBB2_30:                               ;   in Loop: Header=BB2_31 Depth=2
	s_delay_alu instid0(VALU_DEP_2) | instskip(NEXT) | instid1(VALU_DEP_1)
	v_mul_lo_u32 v6, v18, v9
	v_cvt_f32_i32_e32 v9, v6
	s_delay_alu instid0(VALU_DEP_1) | instskip(NEXT) | instid1(VALU_DEP_1)
	v_div_scale_f32 v6, null, v9, v9, v8
	v_rcp_f32_e32 v7, v6
	v_nop
	s_delay_alu instid0(TRANS32_DEP_1) | instskip(NEXT) | instid1(VALU_DEP_1)
	v_fma_f32 v10, -v6, v7, 1.0
	v_fmac_f32_e32 v7, v10, v7
	v_div_scale_f32 v10, vcc_lo, v8, v9, v8
	s_delay_alu instid0(VALU_DEP_1) | instskip(NEXT) | instid1(VALU_DEP_1)
	v_mul_f32_e32 v11, v10, v7
	v_fma_f32 v12, -v6, v11, v10
	s_delay_alu instid0(VALU_DEP_1) | instskip(NEXT) | instid1(VALU_DEP_1)
	v_fmac_f32_e32 v11, v12, v7
	v_fma_f32 v6, -v6, v11, v10
	s_delay_alu instid0(VALU_DEP_1) | instskip(SKIP_2) | instid1(VALU_DEP_3)
	v_div_fmas_f32 v10, v6, v7, v11
	v_lshl_add_u64 v[6:7], v[0:1], 1, v[4:5]
	v_add_nc_u32_e32 v0, s37, v0
	v_div_fixup_f32 v8, v10, v9, v8
	s_delay_alu instid0(VALU_DEP_2) | instskip(NEXT) | instid1(VALU_DEP_2)
	v_cmp_le_i32_e32 vcc_lo, s21, v0
	v_cvt_f16_f32_e32 v8, v8
	s_or_b32 s29, vcc_lo, s29
	global_store_b16 v[6:7], v8, off
	s_wait_xcnt 0x0
	s_and_not1_b32 exec_lo, exec_lo, s29
	s_cbranch_execz .LBB2_14
.LBB2_31:                               ;   Parent Loop BB2_15 Depth=1
                                        ; =>  This Loop Header: Depth=2
                                        ;       Child Loop BB2_47 Depth 3
                                        ;         Child Loop BB2_50 Depth 4
                                        ;           Child Loop BB2_52 Depth 5
	s_mov_b32 s5, s25
                                        ; implicit-def: $vgpr6_vgpr7
	s_delay_alu instid0(SALU_CYCLE_1) | instskip(SKIP_1) | instid1(SALU_CYCLE_1)
	s_cmp_lg_u64 s[4:5], 0
	s_cselect_b32 s2, -1, 0
	s_and_saveexec_b32 s5, s2
	s_delay_alu instid0(SALU_CYCLE_1)
	s_xor_b32 s5, exec_lo, s5
	s_cbranch_execz .LBB2_33
; %bb.32:                               ;   in Loop: Header=BB2_31 Depth=2
	s_ashr_i32 s30, s25, 31
	s_mov_b32 s49, s4
	s_mov_b32 s31, s30
	s_mov_b32 s53, s4
	s_add_nc_u64 s[34:35], s[24:25], s[30:31]
	v_add_nc_u64_e32 v[6:7], 0, v[0:1]
	s_xor_b64 s[34:35], s[34:35], s[30:31]
	v_mov_b32_e32 v9, v1
	s_cvt_f32_u32 s2, s34
	s_cvt_f32_u32 s31, s35
	s_sub_nc_u64 s[46:47], 0, s[34:35]
	s_delay_alu instid0(VALU_DEP_2) | instskip(NEXT) | instid1(SALU_CYCLE_1)
	v_dual_mov_b32 v11, v1 :: v_dual_mov_b32 v10, v7
	s_fmamk_f32 s2, s31, 0x4f800000, s2
	v_dual_mov_b32 v8, v6 :: v_dual_mov_b32 v21, v1
	s_delay_alu instid0(SALU_CYCLE_2) | instskip(NEXT) | instid1(TRANS32_DEP_1)
	v_s_rcp_f32 s2, s2
	s_mul_f32 s2, s2, 0x5f7ffffc
	s_delay_alu instid0(SALU_CYCLE_3) | instskip(NEXT) | instid1(SALU_CYCLE_3)
	s_mul_f32 s31, s2, 0x2f800000
	s_trunc_f32 s31, s31
	s_delay_alu instid0(SALU_CYCLE_3) | instskip(SKIP_1) | instid1(SALU_CYCLE_2)
	s_fmamk_f32 s2, s31, 0xcf800000, s2
	s_cvt_u32_f32 s45, s31
	s_cvt_u32_f32 s44, s2
	s_delay_alu instid0(SALU_CYCLE_3) | instskip(NEXT) | instid1(SALU_CYCLE_1)
	s_mul_u64 s[50:51], s[46:47], s[44:45]
	s_mul_hi_u32 s55, s44, s51
	s_mul_i32 s54, s44, s51
	s_mul_hi_u32 s48, s44, s50
	s_mul_i32 s31, s45, s50
	s_add_nc_u64 s[48:49], s[48:49], s[54:55]
	s_mul_hi_u32 s2, s45, s50
	s_mul_hi_u32 s43, s45, s51
	s_add_co_u32 s31, s48, s31
	s_add_co_ci_u32 s52, s49, s2
	s_mul_i32 s50, s45, s51
	s_add_co_ci_u32 s51, s43, 0
	s_delay_alu instid0(SALU_CYCLE_1) | instskip(SKIP_3) | instid1(SALU_CYCLE_1)
	s_add_nc_u64 s[48:49], s[52:53], s[50:51]
	s_mov_b32 s51, s4
	s_add_co_u32 s44, s44, s48
	s_cselect_b32 s2, -1, 0
	s_cmp_lg_u32 s2, 0
	s_add_co_ci_u32 s45, s45, s49
	s_mov_b32 s49, s4
	s_mul_u64 s[46:47], s[46:47], s[44:45]
	s_delay_alu instid0(SALU_CYCLE_1)
	s_mul_hi_u32 s53, s44, s47
	s_mul_i32 s52, s44, s47
	s_mul_hi_u32 s50, s44, s46
	s_mul_i32 s31, s45, s46
	s_add_nc_u64 s[50:51], s[50:51], s[52:53]
	s_mul_hi_u32 s2, s45, s46
	s_mul_hi_u32 s43, s45, s47
	s_add_co_u32 s31, s50, s31
	s_add_co_ci_u32 s48, s51, s2
	s_mul_i32 s46, s45, s47
	s_add_co_ci_u32 s47, s43, 0
	s_delay_alu instid0(SALU_CYCLE_1) | instskip(NEXT) | instid1(SALU_CYCLE_1)
	s_add_nc_u64 s[46:47], s[48:49], s[46:47]
	s_add_co_u32 s2, s44, s46
	s_cselect_b32 s31, -1, 0
	v_nop
	v_mul_hi_u32 v20, v6, s2
	s_cmp_lg_u32 s31, 0
	s_add_co_ci_u32 s48, s45, s47
	s_and_b64 s[44:45], s[2:3], s[12:13]
	v_mul_u64_e32 v[8:9], s[48:49], v[8:9]
	v_mul_u64_e32 v[12:13], s[44:45], v[10:11]
	;; [unrolled: 1-line block ×3, first 2 shown]
	s_delay_alu instid0(VALU_DEP_3) | instskip(NEXT) | instid1(VALU_DEP_1)
	v_add_nc_u64_e32 v[8:9], v[20:21], v[8:9]
	v_add_co_u32 v8, vcc_lo, v8, v12
	s_delay_alu instid0(VALU_DEP_2) | instskip(NEXT) | instid1(VALU_DEP_4)
	v_add_co_ci_u32_e32 v20, vcc_lo, v9, v13, vcc_lo
	v_add_co_ci_u32_e32 v11, vcc_lo, 0, v11, vcc_lo
	s_delay_alu instid0(VALU_DEP_1) | instskip(NEXT) | instid1(VALU_DEP_1)
	v_add_nc_u64_e32 v[8:9], v[20:21], v[10:11]
	v_mul_u64_e32 v[10:11], s[34:35], v[8:9]
	s_delay_alu instid0(VALU_DEP_1) | instskip(NEXT) | instid1(VALU_DEP_2)
	v_sub_nc_u32_e32 v12, v7, v11
	v_sub_co_u32 v6, vcc_lo, v6, v10
	s_delay_alu instid0(VALU_DEP_1) | instskip(NEXT) | instid1(VALU_DEP_3)
	v_sub_co_ci_u32_e64 v11, null, v7, v11, vcc_lo
	v_subrev_co_ci_u32_e64 v10, null, s35, v12, vcc_lo
	s_delay_alu instid0(VALU_DEP_3) | instskip(SKIP_1) | instid1(VALU_DEP_3)
	v_sub_co_u32 v19, s2, v6, s34
	v_cmp_le_u32_e32 vcc_lo, s34, v6
	v_subrev_co_ci_u32_e64 v10, null, 0, v10, s2
	s_delay_alu instid0(VALU_DEP_3) | instskip(SKIP_2) | instid1(VALU_DEP_4)
	v_cmp_le_u32_e64 s2, s34, v19
	v_add_nc_u64_e32 v[12:13], 2, v[8:9]
	v_cndmask_b32_e64 v21, 0, -1, vcc_lo
	v_cmp_eq_u32_e32 vcc_lo, s35, v10
	v_add_nc_u64_e32 v[6:7], 1, v[8:9]
	v_cndmask_b32_e64 v19, 0, -1, s2
	v_cmp_le_u32_e64 s2, s35, v10
	s_delay_alu instid0(VALU_DEP_1) | instskip(SKIP_1) | instid1(VALU_DEP_2)
	v_cndmask_b32_e64 v20, 0, -1, s2
	v_cmp_eq_u32_e64 s2, s35, v11
	v_cndmask_b32_e32 v10, v20, v19, vcc_lo
	v_cmp_le_u32_e32 vcc_lo, s35, v11
	v_cndmask_b32_e64 v19, 0, -1, vcc_lo
	s_delay_alu instid0(VALU_DEP_3) | instskip(NEXT) | instid1(VALU_DEP_2)
	v_cmp_ne_u32_e32 vcc_lo, 0, v10
	v_dual_cndmask_b32 v10, v19, v21, s2 :: v_dual_cndmask_b32 v6, v6, v12, vcc_lo
	v_cndmask_b32_e32 v7, v7, v13, vcc_lo
	s_delay_alu instid0(VALU_DEP_2) | instskip(NEXT) | instid1(VALU_DEP_2)
	v_cmp_ne_u32_e32 vcc_lo, 0, v10
	v_dual_cndmask_b32 v9, v9, v7 :: v_dual_cndmask_b32 v8, v8, v6
	v_dual_mov_b32 v7, s30 :: v_dual_mov_b32 v6, s30
	s_delay_alu instid0(VALU_DEP_2) | instskip(NEXT) | instid1(VALU_DEP_3)
	v_xor_b32_e32 v9, s30, v9
	v_xor_b32_e32 v8, s30, v8
	s_delay_alu instid0(VALU_DEP_1)
	v_sub_nc_u64_e32 v[6:7], v[8:9], v[6:7]
.LBB2_33:                               ;   in Loop: Header=BB2_31 Depth=2
	s_and_not1_saveexec_b32 s2, s5
	s_cbranch_execz .LBB2_35
; %bb.34:                               ;   in Loop: Header=BB2_31 Depth=2
	v_cvt_f32_u32_e32 v6, s24
	s_sub_co_i32 s5, 0, s24
	s_delay_alu instid0(VALU_DEP_1) | instskip(SKIP_1) | instid1(TRANS32_DEP_1)
	v_rcp_iflag_f32_e32 v6, v6
	v_nop
	v_mul_f32_e32 v6, 0x4f7ffffe, v6
	s_delay_alu instid0(VALU_DEP_1) | instskip(NEXT) | instid1(VALU_DEP_1)
	v_cvt_u32_f32_e32 v6, v6
	v_mul_lo_u32 v7, s5, v6
	s_delay_alu instid0(VALU_DEP_1) | instskip(NEXT) | instid1(VALU_DEP_1)
	v_mul_hi_u32 v7, v6, v7
	v_add_nc_u32_e32 v6, v6, v7
	s_delay_alu instid0(VALU_DEP_1) | instskip(NEXT) | instid1(VALU_DEP_1)
	v_mul_hi_u32 v6, v0, v6
	v_mul_lo_u32 v7, v6, s24
	s_delay_alu instid0(VALU_DEP_1) | instskip(NEXT) | instid1(VALU_DEP_1)
	v_dual_add_nc_u32 v8, 1, v6 :: v_dual_sub_nc_u32 v7, v0, v7
	v_subrev_nc_u32_e32 v9, s24, v7
	v_cmp_le_u32_e32 vcc_lo, s24, v7
	s_delay_alu instid0(VALU_DEP_2) | instskip(NEXT) | instid1(VALU_DEP_1)
	v_dual_cndmask_b32 v7, v7, v9 :: v_dual_cndmask_b32 v6, v6, v8
	v_cmp_le_u32_e32 vcc_lo, s24, v7
	s_delay_alu instid0(VALU_DEP_2) | instskip(NEXT) | instid1(VALU_DEP_1)
	v_dual_mov_b32 v7, v1 :: v_dual_add_nc_u32 v8, 1, v6
	v_cndmask_b32_e32 v6, v6, v8, vcc_lo
.LBB2_35:                               ;   in Loop: Header=BB2_31 Depth=2
	s_or_b32 exec_lo, exec_lo, s2
	s_delay_alu instid0(VALU_DEP_1) | instskip(NEXT) | instid1(VALU_DEP_1)
	v_mul_u64_e32 v[8:9], s[24:25], v[6:7]
	v_sub_nc_u64_e32 v[8:9], v[0:1], v[8:9]
	s_delay_alu instid0(VALU_DEP_1) | instskip(NEXT) | instid1(VALU_DEP_1)
	v_mul_u64_e32 v[10:11], s[14:15], v[8:9]
	v_dual_mov_b32 v8, v1 :: v_dual_bitop2_b32 v9, s25, v11 bitop3:0x54
	s_delay_alu instid0(VALU_DEP_1) | instskip(SKIP_1) | instid1(SALU_CYCLE_1)
	v_cmp_ne_u64_e32 vcc_lo, 0, v[8:9]
                                        ; implicit-def: $vgpr8_vgpr9
	s_and_saveexec_b32 s2, vcc_lo
	s_xor_b32 s5, exec_lo, s2
	s_cbranch_execz .LBB2_37
; %bb.36:                               ;   in Loop: Header=BB2_31 Depth=2
	s_ashr_i32 s30, s25, 31
	s_mov_b32 s49, s4
	s_mov_b32 s31, s30
	;; [unrolled: 1-line block ×3, first 2 shown]
	s_add_nc_u64 s[34:35], s[24:25], s[30:31]
	v_dual_mov_b32 v13, v1 :: v_dual_ashrrev_i32 v8, 31, v11
	s_xor_b64 s[34:35], s[34:35], s[30:31]
	s_delay_alu instid0(SALU_CYCLE_1) | instskip(SKIP_3) | instid1(SALU_CYCLE_1)
	s_cvt_f32_u32 s2, s34
	s_cvt_f32_u32 s31, s35
	s_sub_nc_u64 s[46:47], 0, s[34:35]
	v_mov_b32_e32 v9, v8
	s_fmamk_f32 s2, s31, 0x4f800000, s2
	s_delay_alu instid0(VALU_DEP_1) | instskip(NEXT) | instid1(SALU_CYCLE_2)
	v_add_nc_u64_e32 v[10:11], v[10:11], v[8:9]
	v_s_rcp_f32 s2, s2
	s_delay_alu instid0(VALU_DEP_1) | instskip(NEXT) | instid1(VALU_DEP_2)
	v_dual_mov_b32 v23, v1 :: v_dual_bitop2_b32 v22, v11, v8 bitop3:0x14
	v_xor_b32_e32 v12, v10, v8
	s_delay_alu instid0(TRANS32_DEP_1) | instskip(SKIP_1) | instid1(SALU_CYCLE_2)
	s_mul_f32 s2, s2, 0x5f7ffffc
	v_mov_b32_e32 v27, v1
	s_mul_f32 s31, s2, 0x2f800000
	s_delay_alu instid0(SALU_CYCLE_3) | instskip(NEXT) | instid1(SALU_CYCLE_3)
	s_trunc_f32 s31, s31
	s_fmamk_f32 s2, s31, 0xcf800000, s2
	s_cvt_u32_f32 s45, s31
	s_delay_alu instid0(SALU_CYCLE_2) | instskip(NEXT) | instid1(SALU_CYCLE_3)
	s_cvt_u32_f32 s44, s2
	s_mul_u64 s[50:51], s[46:47], s[44:45]
	s_delay_alu instid0(SALU_CYCLE_1)
	s_mul_hi_u32 s55, s44, s51
	s_mul_i32 s54, s44, s51
	s_mul_hi_u32 s48, s44, s50
	s_mul_i32 s31, s45, s50
	s_add_nc_u64 s[48:49], s[48:49], s[54:55]
	s_mul_hi_u32 s2, s45, s50
	s_mul_hi_u32 s43, s45, s51
	s_add_co_u32 s31, s48, s31
	s_add_co_ci_u32 s52, s49, s2
	s_mul_i32 s50, s45, s51
	s_add_co_ci_u32 s51, s43, 0
	s_delay_alu instid0(SALU_CYCLE_1) | instskip(SKIP_3) | instid1(SALU_CYCLE_1)
	s_add_nc_u64 s[48:49], s[52:53], s[50:51]
	s_mov_b32 s51, s4
	s_add_co_u32 s44, s44, s48
	s_cselect_b32 s2, -1, 0
	s_cmp_lg_u32 s2, 0
	s_add_co_ci_u32 s45, s45, s49
	s_mov_b32 s49, s4
	s_mul_u64 s[46:47], s[46:47], s[44:45]
	s_delay_alu instid0(SALU_CYCLE_1)
	s_mul_hi_u32 s53, s44, s47
	s_mul_i32 s52, s44, s47
	s_mul_hi_u32 s50, s44, s46
	s_mul_i32 s31, s45, s46
	s_add_nc_u64 s[50:51], s[50:51], s[52:53]
	s_mul_hi_u32 s2, s45, s46
	s_mul_hi_u32 s43, s45, s47
	s_add_co_u32 s31, s50, s31
	s_add_co_ci_u32 s48, s51, s2
	s_mul_i32 s46, s45, s47
	s_add_co_ci_u32 s47, s43, 0
	s_delay_alu instid0(SALU_CYCLE_1) | instskip(NEXT) | instid1(SALU_CYCLE_1)
	s_add_nc_u64 s[46:47], s[48:49], s[46:47]
	s_add_co_u32 s2, s44, s46
	s_cselect_b32 s31, -1, 0
	v_mul_hi_u32 v26, v12, s2
	s_cmp_lg_u32 s31, 0
	s_add_co_ci_u32 s48, s45, s47
	s_and_b64 s[44:45], s[2:3], s[12:13]
	v_mul_u64_e32 v[20:21], s[48:49], v[12:13]
	v_mul_u64_e32 v[10:11], s[44:45], v[22:23]
	;; [unrolled: 1-line block ×3, first 2 shown]
	s_delay_alu instid0(VALU_DEP_3) | instskip(NEXT) | instid1(VALU_DEP_1)
	v_add_nc_u64_e32 v[20:21], v[26:27], v[20:21]
	v_add_co_u32 v7, vcc_lo, v20, v10
	s_delay_alu instid0(VALU_DEP_2) | instskip(NEXT) | instid1(VALU_DEP_4)
	v_add_co_ci_u32_e32 v26, vcc_lo, v21, v11, vcc_lo
	v_add_co_ci_u32_e32 v25, vcc_lo, 0, v25, vcc_lo
	s_delay_alu instid0(VALU_DEP_1) | instskip(NEXT) | instid1(VALU_DEP_1)
	v_add_nc_u64_e32 v[10:11], v[26:27], v[24:25]
	v_mul_u64_e32 v[20:21], s[34:35], v[10:11]
	s_delay_alu instid0(VALU_DEP_1) | instskip(NEXT) | instid1(VALU_DEP_2)
	v_sub_nc_u32_e32 v7, v22, v21
	v_sub_co_u32 v9, vcc_lo, v12, v20
	s_delay_alu instid0(VALU_DEP_1) | instskip(NEXT) | instid1(VALU_DEP_3)
	v_sub_co_ci_u32_e64 v19, null, v22, v21, vcc_lo
	v_subrev_co_ci_u32_e64 v7, null, s35, v7, vcc_lo
	s_delay_alu instid0(VALU_DEP_3) | instskip(SKIP_1) | instid1(VALU_DEP_3)
	v_sub_co_u32 v12, s2, v9, s34
	v_add_nc_u64_e32 v[20:21], 1, v[10:11]
	v_subrev_co_ci_u32_e64 v7, null, 0, v7, s2
	s_delay_alu instid0(VALU_DEP_3) | instskip(SKIP_1) | instid1(VALU_DEP_3)
	v_cmp_le_u32_e32 vcc_lo, s34, v12
	v_cndmask_b32_e64 v12, 0, -1, vcc_lo
	v_cmp_le_u32_e32 vcc_lo, s35, v7
	v_cndmask_b32_e64 v13, 0, -1, vcc_lo
	;; [unrolled: 2-line block ×4, first 2 shown]
	v_cmp_eq_u32_e32 vcc_lo, s35, v7
	v_cndmask_b32_e32 v7, v13, v12, vcc_lo
	v_cmp_eq_u32_e32 vcc_lo, s35, v19
	v_add_nc_u64_e32 v[12:13], 2, v[10:11]
	v_cndmask_b32_e32 v9, v22, v9, vcc_lo
	s_delay_alu instid0(VALU_DEP_4) | instskip(NEXT) | instid1(VALU_DEP_2)
	v_cmp_ne_u32_e32 vcc_lo, 0, v7
	v_cmp_ne_u32_e64 s2, 0, v9
	s_delay_alu instid0(VALU_DEP_4) | instskip(NEXT) | instid1(VALU_DEP_1)
	v_dual_cndmask_b32 v7, v21, v13, vcc_lo :: v_dual_cndmask_b32 v9, v20, v12, vcc_lo
	v_dual_cndmask_b32 v7, v11, v7, s2 :: v_dual_bitop2_b32 v8, s30, v8 bitop3:0x14
	s_delay_alu instid0(VALU_DEP_1) | instskip(NEXT) | instid1(VALU_DEP_2)
	v_dual_cndmask_b32 v10, v10, v9, s2 :: v_dual_mov_b32 v9, v8
	v_xor_b32_e32 v11, v7, v8
	s_delay_alu instid0(VALU_DEP_2) | instskip(NEXT) | instid1(VALU_DEP_1)
	v_xor_b32_e32 v10, v10, v8
	v_sub_nc_u64_e32 v[8:9], v[10:11], v[8:9]
                                        ; implicit-def: $vgpr10_vgpr11
.LBB2_37:                               ;   in Loop: Header=BB2_31 Depth=2
	s_and_not1_saveexec_b32 s2, s5
	s_cbranch_execz .LBB2_39
; %bb.38:                               ;   in Loop: Header=BB2_31 Depth=2
	v_cvt_f32_u32_e32 v7, s24
	s_sub_co_i32 s5, 0, s24
	s_delay_alu instid0(VALU_DEP_1) | instskip(SKIP_1) | instid1(TRANS32_DEP_1)
	v_rcp_iflag_f32_e32 v7, v7
	v_nop
	v_mul_f32_e32 v7, 0x4f7ffffe, v7
	s_delay_alu instid0(VALU_DEP_1) | instskip(NEXT) | instid1(VALU_DEP_1)
	v_cvt_u32_f32_e32 v7, v7
	v_mul_lo_u32 v8, s5, v7
	s_delay_alu instid0(VALU_DEP_1) | instskip(NEXT) | instid1(VALU_DEP_1)
	v_mul_hi_u32 v8, v7, v8
	v_add_nc_u32_e32 v7, v7, v8
	s_delay_alu instid0(VALU_DEP_1) | instskip(NEXT) | instid1(VALU_DEP_1)
	v_mul_hi_u32 v7, v10, v7
	v_mul_lo_u32 v8, v7, s24
	s_delay_alu instid0(VALU_DEP_1) | instskip(NEXT) | instid1(VALU_DEP_1)
	v_dual_add_nc_u32 v9, 1, v7 :: v_dual_sub_nc_u32 v8, v10, v8
	v_subrev_nc_u32_e32 v10, s24, v8
	v_cmp_le_u32_e32 vcc_lo, s24, v8
	s_delay_alu instid0(VALU_DEP_2) | instskip(NEXT) | instid1(VALU_DEP_1)
	v_dual_cndmask_b32 v8, v8, v10 :: v_dual_cndmask_b32 v7, v7, v9
	v_cmp_le_u32_e32 vcc_lo, s24, v8
	s_delay_alu instid0(VALU_DEP_2) | instskip(NEXT) | instid1(VALU_DEP_1)
	v_add_nc_u32_e32 v9, 1, v7
	v_cndmask_b32_e32 v8, v7, v9, vcc_lo
.LBB2_39:                               ;   in Loop: Header=BB2_31 Depth=2
	s_or_b32 exec_lo, exec_lo, s2
	v_dual_mov_b32 v12, v1 :: v_dual_add_nc_u32 v7, 1, v0
	s_delay_alu instid0(VALU_DEP_1) | instskip(NEXT) | instid1(VALU_DEP_1)
	v_mad_nc_u64_u32 v[10:11], v7, s14, -1
	v_mad_u32 v11, v7, s15, v11
	s_delay_alu instid0(VALU_DEP_1) | instskip(NEXT) | instid1(VALU_DEP_1)
	v_or_b32_e32 v13, s25, v11
	v_cmp_ne_u64_e32 vcc_lo, 0, v[12:13]
                                        ; implicit-def: $vgpr12_vgpr13
	s_and_saveexec_b32 s2, vcc_lo
	s_delay_alu instid0(SALU_CYCLE_1)
	s_xor_b32 s5, exec_lo, s2
	s_cbranch_execz .LBB2_41
; %bb.40:                               ;   in Loop: Header=BB2_31 Depth=2
	s_ashr_i32 s30, s25, 31
	s_mov_b32 s49, s4
	s_mov_b32 s31, s30
	;; [unrolled: 1-line block ×3, first 2 shown]
	s_add_nc_u64 s[34:35], s[24:25], s[30:31]
	v_dual_mov_b32 v21, v1 :: v_dual_ashrrev_i32 v12, 31, v11
	s_xor_b64 s[34:35], s[34:35], s[30:31]
	s_delay_alu instid0(SALU_CYCLE_1) | instskip(SKIP_3) | instid1(SALU_CYCLE_1)
	s_cvt_f32_u32 s2, s34
	s_cvt_f32_u32 s31, s35
	s_sub_nc_u64 s[46:47], 0, s[34:35]
	v_mov_b32_e32 v13, v12
	s_fmamk_f32 s2, s31, 0x4f800000, s2
	s_delay_alu instid0(VALU_DEP_1) | instskip(NEXT) | instid1(SALU_CYCLE_2)
	v_add_nc_u64_e32 v[10:11], v[10:11], v[12:13]
	v_s_rcp_f32 s2, s2
	s_delay_alu instid0(VALU_DEP_1) | instskip(NEXT) | instid1(VALU_DEP_2)
	v_dual_mov_b32 v25, v1 :: v_dual_bitop2_b32 v24, v11, v12 bitop3:0x14
	v_xor_b32_e32 v20, v10, v12
	s_delay_alu instid0(TRANS32_DEP_1) | instskip(SKIP_1) | instid1(SALU_CYCLE_2)
	s_mul_f32 s2, s2, 0x5f7ffffc
	v_dual_mov_b32 v29, v1 :: v_dual_bitop2_b32 v12, s30, v12 bitop3:0x14
	s_mul_f32 s31, s2, 0x2f800000
	s_delay_alu instid0(SALU_CYCLE_3) | instskip(NEXT) | instid1(SALU_CYCLE_3)
	s_trunc_f32 s31, s31
	s_fmamk_f32 s2, s31, 0xcf800000, s2
	s_cvt_u32_f32 s45, s31
	s_delay_alu instid0(SALU_CYCLE_2) | instskip(NEXT) | instid1(SALU_CYCLE_3)
	s_cvt_u32_f32 s44, s2
	s_mul_u64 s[50:51], s[46:47], s[44:45]
	s_delay_alu instid0(SALU_CYCLE_1)
	s_mul_hi_u32 s55, s44, s51
	s_mul_i32 s54, s44, s51
	s_mul_hi_u32 s48, s44, s50
	s_mul_i32 s31, s45, s50
	s_add_nc_u64 s[48:49], s[48:49], s[54:55]
	s_mul_hi_u32 s2, s45, s50
	s_mul_hi_u32 s43, s45, s51
	s_add_co_u32 s31, s48, s31
	s_add_co_ci_u32 s52, s49, s2
	s_mul_i32 s50, s45, s51
	s_add_co_ci_u32 s51, s43, 0
	s_delay_alu instid0(SALU_CYCLE_1) | instskip(SKIP_3) | instid1(SALU_CYCLE_1)
	s_add_nc_u64 s[48:49], s[52:53], s[50:51]
	s_mov_b32 s51, s4
	s_add_co_u32 s44, s44, s48
	s_cselect_b32 s2, -1, 0
	s_cmp_lg_u32 s2, 0
	s_add_co_ci_u32 s45, s45, s49
	s_mov_b32 s49, s4
	s_mul_u64 s[46:47], s[46:47], s[44:45]
	s_delay_alu instid0(SALU_CYCLE_1)
	s_mul_hi_u32 s53, s44, s47
	s_mul_i32 s52, s44, s47
	s_mul_hi_u32 s50, s44, s46
	s_mul_i32 s31, s45, s46
	s_add_nc_u64 s[50:51], s[50:51], s[52:53]
	s_mul_hi_u32 s2, s45, s46
	s_mul_hi_u32 s43, s45, s47
	s_add_co_u32 s31, s50, s31
	s_add_co_ci_u32 s48, s51, s2
	s_mul_i32 s46, s45, s47
	s_add_co_ci_u32 s47, s43, 0
	s_delay_alu instid0(SALU_CYCLE_1) | instskip(NEXT) | instid1(SALU_CYCLE_1)
	s_add_nc_u64 s[46:47], s[48:49], s[46:47]
	s_add_co_u32 s2, s44, s46
	s_cselect_b32 s31, -1, 0
	v_mul_hi_u32 v28, v20, s2
	s_cmp_lg_u32 s31, 0
	s_add_co_ci_u32 s48, s45, s47
	s_and_b64 s[44:45], s[2:3], s[12:13]
	v_mul_u64_e32 v[22:23], s[48:49], v[20:21]
	v_mul_u64_e32 v[10:11], s[44:45], v[24:25]
	;; [unrolled: 1-line block ×3, first 2 shown]
	s_delay_alu instid0(VALU_DEP_3) | instskip(NEXT) | instid1(VALU_DEP_1)
	v_add_nc_u64_e32 v[22:23], v[28:29], v[22:23]
	v_add_co_u32 v7, vcc_lo, v22, v10
	s_delay_alu instid0(VALU_DEP_2) | instskip(NEXT) | instid1(VALU_DEP_4)
	v_add_co_ci_u32_e32 v28, vcc_lo, v23, v11, vcc_lo
	v_add_co_ci_u32_e32 v27, vcc_lo, 0, v27, vcc_lo
	s_delay_alu instid0(VALU_DEP_1) | instskip(NEXT) | instid1(VALU_DEP_1)
	v_add_nc_u64_e32 v[10:11], v[28:29], v[26:27]
	v_mul_u64_e32 v[22:23], s[34:35], v[10:11]
	s_delay_alu instid0(VALU_DEP_1) | instskip(NEXT) | instid1(VALU_DEP_2)
	v_sub_nc_u32_e32 v7, v24, v23
	v_sub_co_u32 v9, vcc_lo, v20, v22
	s_delay_alu instid0(VALU_DEP_1) | instskip(NEXT) | instid1(VALU_DEP_3)
	v_sub_co_ci_u32_e64 v19, null, v24, v23, vcc_lo
	v_subrev_co_ci_u32_e64 v7, null, s35, v7, vcc_lo
	s_delay_alu instid0(VALU_DEP_3) | instskip(SKIP_1) | instid1(VALU_DEP_3)
	v_sub_co_u32 v13, s2, v9, s34
	v_add_nc_u64_e32 v[22:23], 1, v[10:11]
	v_subrev_co_ci_u32_e64 v7, null, 0, v7, s2
	s_delay_alu instid0(VALU_DEP_3) | instskip(SKIP_1) | instid1(VALU_DEP_3)
	v_cmp_le_u32_e32 vcc_lo, s34, v13
	v_cndmask_b32_e64 v13, 0, -1, vcc_lo
	v_cmp_le_u32_e32 vcc_lo, s35, v7
	v_cndmask_b32_e64 v20, 0, -1, vcc_lo
	;; [unrolled: 2-line block ×4, first 2 shown]
	v_cmp_eq_u32_e32 vcc_lo, s35, v7
	v_cndmask_b32_e32 v7, v20, v13, vcc_lo
	v_cmp_eq_u32_e32 vcc_lo, s35, v19
	v_add_nc_u64_e32 v[20:21], 2, v[10:11]
	v_mov_b32_e32 v13, v12
	v_cndmask_b32_e32 v9, v24, v9, vcc_lo
	v_cmp_ne_u32_e32 vcc_lo, 0, v7
	s_delay_alu instid0(VALU_DEP_2) | instskip(SKIP_1) | instid1(VALU_DEP_1)
	v_cmp_ne_u32_e64 s2, 0, v9
	v_dual_cndmask_b32 v7, v23, v21, vcc_lo :: v_dual_cndmask_b32 v9, v22, v20, vcc_lo
	v_dual_cndmask_b32 v7, v11, v7, s2 :: v_dual_cndmask_b32 v9, v10, v9, s2
	s_delay_alu instid0(VALU_DEP_1) | instskip(NEXT) | instid1(VALU_DEP_2)
	v_xor_b32_e32 v11, v7, v12
	v_xor_b32_e32 v10, v9, v12
	s_delay_alu instid0(VALU_DEP_1)
	v_sub_nc_u64_e32 v[12:13], v[10:11], v[12:13]
                                        ; implicit-def: $vgpr10_vgpr11
.LBB2_41:                               ;   in Loop: Header=BB2_31 Depth=2
	s_and_not1_saveexec_b32 s2, s5
	s_cbranch_execz .LBB2_43
; %bb.42:                               ;   in Loop: Header=BB2_31 Depth=2
	v_cvt_f32_u32_e32 v7, s24
	s_sub_co_i32 s5, 0, s24
	s_delay_alu instid0(VALU_DEP_1) | instskip(SKIP_1) | instid1(TRANS32_DEP_1)
	v_rcp_iflag_f32_e32 v7, v7
	v_nop
	v_mul_f32_e32 v7, 0x4f7ffffe, v7
	s_delay_alu instid0(VALU_DEP_1) | instskip(NEXT) | instid1(VALU_DEP_1)
	v_cvt_u32_f32_e32 v7, v7
	v_mul_lo_u32 v9, s5, v7
	s_delay_alu instid0(VALU_DEP_1) | instskip(NEXT) | instid1(VALU_DEP_1)
	v_mul_hi_u32 v9, v7, v9
	v_add_nc_u32_e32 v7, v7, v9
	s_delay_alu instid0(VALU_DEP_1) | instskip(NEXT) | instid1(VALU_DEP_1)
	v_mul_hi_u32 v7, v10, v7
	v_mul_lo_u32 v9, v7, s24
	s_delay_alu instid0(VALU_DEP_1) | instskip(NEXT) | instid1(VALU_DEP_1)
	v_dual_sub_nc_u32 v9, v10, v9 :: v_dual_add_nc_u32 v10, 1, v7
	v_subrev_nc_u32_e32 v11, s24, v9
	v_cmp_le_u32_e32 vcc_lo, s24, v9
	s_delay_alu instid0(VALU_DEP_2) | instskip(NEXT) | instid1(VALU_DEP_1)
	v_dual_cndmask_b32 v9, v9, v11, vcc_lo :: v_dual_cndmask_b32 v7, v7, v10, vcc_lo
	v_cmp_le_u32_e32 vcc_lo, s24, v9
	s_delay_alu instid0(VALU_DEP_2) | instskip(NEXT) | instid1(VALU_DEP_1)
	v_add_nc_u32_e32 v10, 1, v7
	v_cndmask_b32_e32 v12, v7, v10, vcc_lo
.LBB2_43:                               ;   in Loop: Header=BB2_31 Depth=2
	s_or_b32 exec_lo, exec_lo, s2
	v_mad_u32 v10, v6, s14, v8
	s_and_not1_b32 vcc_lo, exec_lo, s38
	s_delay_alu instid0(VALU_DEP_1) | instskip(NEXT) | instid1(VALU_DEP_1)
	v_sub_nc_u32_e32 v6, v12, v10
	v_add_nc_u32_e32 v9, 1, v6
	s_cbranch_vccnz .LBB2_29
; %bb.44:                               ;   in Loop: Header=BB2_31 Depth=2
	v_mov_b32_e32 v8, 0
	s_mov_b32 s5, 0
	s_delay_alu instid0(VALU_DEP_2)
	v_cmp_lt_i32_e32 vcc_lo, 0, v9
	s_branch .LBB2_47
.LBB2_45:                               ;   in Loop: Header=BB2_47 Depth=3
	s_or_b32 exec_lo, exec_lo, s35
.LBB2_46:                               ;   in Loop: Header=BB2_47 Depth=3
	s_delay_alu instid0(SALU_CYCLE_1) | instskip(SKIP_1) | instid1(SALU_CYCLE_1)
	s_or_b32 exec_lo, exec_lo, s34
	s_add_co_i32 s5, s5, 1
	s_cmp_lt_i32 s5, s36
	s_cbranch_scc0 .LBB2_30
.LBB2_47:                               ;   Parent Loop BB2_15 Depth=1
                                        ;     Parent Loop BB2_31 Depth=2
                                        ; =>    This Loop Header: Depth=3
                                        ;         Child Loop BB2_50 Depth 4
                                        ;           Child Loop BB2_52 Depth 5
	s_and_saveexec_b32 s34, s1
	s_cbranch_execz .LBB2_46
; %bb.48:                               ;   in Loop: Header=BB2_47 Depth=3
	s_add_co_i32 s30, s5, s33
	s_mov_b32 s35, 0
	s_ashr_i32 s31, s30, 31
	s_mov_b32 s43, 0
	s_mul_u64 s[30:31], s[10:11], s[30:31]
	s_delay_alu instid0(SALU_CYCLE_1) | instskip(NEXT) | instid1(SALU_CYCLE_1)
	s_lshl_b64 s[30:31], s[30:31], 1
	s_add_nc_u64 s[30:31], s[8:9], s[30:31]
	s_branch .LBB2_50
.LBB2_49:                               ;   in Loop: Header=BB2_50 Depth=4
	s_or_b32 exec_lo, exec_lo, s44
	s_add_co_i32 s43, s43, 1
	s_delay_alu instid0(SALU_CYCLE_1) | instskip(SKIP_1) | instid1(SALU_CYCLE_1)
	v_cmp_ge_i32_e64 s2, s43, v17
	s_or_b32 s35, s2, s35
	s_and_not1_b32 exec_lo, exec_lo, s35
	s_cbranch_execz .LBB2_45
.LBB2_50:                               ;   Parent Loop BB2_15 Depth=1
                                        ;     Parent Loop BB2_31 Depth=2
                                        ;       Parent Loop BB2_47 Depth=3
                                        ; =>      This Loop Header: Depth=4
                                        ;           Child Loop BB2_52 Depth 5
	s_and_saveexec_b32 s44, vcc_lo
	s_cbranch_execz .LBB2_49
; %bb.51:                               ;   in Loop: Header=BB2_50 Depth=4
	v_add_nc_u32_e32 v6, s43, v3
	s_mov_b32 s45, 0
	s_mov_b32 s46, 0
	s_delay_alu instid0(VALU_DEP_1) | instskip(NEXT) | instid1(VALU_DEP_1)
	v_ashrrev_i32_e32 v7, 31, v6
	v_mul_u64_e32 v[6:7], s[16:17], v[6:7]
	s_delay_alu instid0(VALU_DEP_1)
	v_lshl_add_u64 v[6:7], v[6:7], 1, s[30:31]
.LBB2_52:                               ;   Parent Loop BB2_15 Depth=1
                                        ;     Parent Loop BB2_31 Depth=2
                                        ;       Parent Loop BB2_47 Depth=3
                                        ;         Parent Loop BB2_50 Depth=4
                                        ; =>        This Inner Loop Header: Depth=5
	v_add_nc_u32_e32 v12, s46, v10
	s_add_co_i32 s46, s46, 1
	s_delay_alu instid0(SALU_CYCLE_1) | instskip(NEXT) | instid1(VALU_DEP_2)
	v_cmp_ge_i32_e64 s2, s46, v9
	v_ashrrev_i32_e32 v13, 31, v12
	s_or_b32 s45, s2, s45
	s_delay_alu instid0(VALU_DEP_1) | instskip(NEXT) | instid1(VALU_DEP_1)
	v_mul_u64_e32 v[12:13], s[18:19], v[12:13]
	v_lshl_add_u64 v[12:13], v[12:13], 1, v[6:7]
	global_load_u16 v11, v[12:13], off
	s_wait_loadcnt 0x0
	v_cvt_f32_f16_e32 v11, v11
	s_delay_alu instid0(VALU_DEP_1)
	v_add_f32_e32 v8, v8, v11
	s_wait_xcnt 0x0
	s_and_not1_b32 exec_lo, exec_lo, s45
	s_cbranch_execnz .LBB2_52
; %bb.53:                               ;   in Loop: Header=BB2_50 Depth=4
	s_or_b32 exec_lo, exec_lo, s45
	s_branch .LBB2_49
.LBB2_54:
	s_endpgm
.LBB2_55:
                                        ; implicit-def: $sgpr22_sgpr23
	s_branch .LBB2_2
.LBB2_56:
                                        ; implicit-def: $sgpr26_sgpr27
	s_branch .LBB2_5
.LBB2_57:
                                        ; implicit-def: $sgpr30_sgpr31
	s_load_b32 s27, s[0:1], 0x6c
	s_branch .LBB2_8
.LBB2_58:
                                        ; implicit-def: $sgpr34_sgpr35
	s_load_b32 s41, s[0:1], 0x64
	s_branch .LBB2_12
	.section	.rodata,"a",@progbits
	.p2align	6, 0x0
	.amdhsa_kernel _ZN2at6native12_GLOBAL__N_119adaptiveaveragepoolIN3c104HalfEfEEvPKT_PS5_iiiiiilllllll
		.amdhsa_group_segment_fixed_size 0
		.amdhsa_private_segment_fixed_size 0
		.amdhsa_kernarg_size 352
		.amdhsa_user_sgpr_count 2
		.amdhsa_user_sgpr_dispatch_ptr 0
		.amdhsa_user_sgpr_queue_ptr 0
		.amdhsa_user_sgpr_kernarg_segment_ptr 1
		.amdhsa_user_sgpr_dispatch_id 0
		.amdhsa_user_sgpr_kernarg_preload_length 0
		.amdhsa_user_sgpr_kernarg_preload_offset 0
		.amdhsa_user_sgpr_private_segment_size 0
		.amdhsa_wavefront_size32 1
		.amdhsa_uses_dynamic_stack 0
		.amdhsa_enable_private_segment 0
		.amdhsa_system_sgpr_workgroup_id_x 1
		.amdhsa_system_sgpr_workgroup_id_y 1
		.amdhsa_system_sgpr_workgroup_id_z 0
		.amdhsa_system_sgpr_workgroup_info 0
		.amdhsa_system_vgpr_workitem_id 1
		.amdhsa_next_free_vgpr 30
		.amdhsa_next_free_sgpr 56
		.amdhsa_named_barrier_count 0
		.amdhsa_reserve_vcc 1
		.amdhsa_float_round_mode_32 0
		.amdhsa_float_round_mode_16_64 0
		.amdhsa_float_denorm_mode_32 3
		.amdhsa_float_denorm_mode_16_64 3
		.amdhsa_fp16_overflow 0
		.amdhsa_memory_ordered 1
		.amdhsa_forward_progress 1
		.amdhsa_inst_pref_size 62
		.amdhsa_round_robin_scheduling 0
		.amdhsa_exception_fp_ieee_invalid_op 0
		.amdhsa_exception_fp_denorm_src 0
		.amdhsa_exception_fp_ieee_div_zero 0
		.amdhsa_exception_fp_ieee_overflow 0
		.amdhsa_exception_fp_ieee_underflow 0
		.amdhsa_exception_fp_ieee_inexact 0
		.amdhsa_exception_int_div_zero 0
	.end_amdhsa_kernel
	.section	.text._ZN2at6native12_GLOBAL__N_119adaptiveaveragepoolIN3c104HalfEfEEvPKT_PS5_iiiiiilllllll,"axG",@progbits,_ZN2at6native12_GLOBAL__N_119adaptiveaveragepoolIN3c104HalfEfEEvPKT_PS5_iiiiiilllllll,comdat
.Lfunc_end2:
	.size	_ZN2at6native12_GLOBAL__N_119adaptiveaveragepoolIN3c104HalfEfEEvPKT_PS5_iiiiiilllllll, .Lfunc_end2-_ZN2at6native12_GLOBAL__N_119adaptiveaveragepoolIN3c104HalfEfEEvPKT_PS5_iiiiiilllllll
                                        ; -- End function
	.set _ZN2at6native12_GLOBAL__N_119adaptiveaveragepoolIN3c104HalfEfEEvPKT_PS5_iiiiiilllllll.num_vgpr, 30
	.set _ZN2at6native12_GLOBAL__N_119adaptiveaveragepoolIN3c104HalfEfEEvPKT_PS5_iiiiiilllllll.num_agpr, 0
	.set _ZN2at6native12_GLOBAL__N_119adaptiveaveragepoolIN3c104HalfEfEEvPKT_PS5_iiiiiilllllll.numbered_sgpr, 56
	.set _ZN2at6native12_GLOBAL__N_119adaptiveaveragepoolIN3c104HalfEfEEvPKT_PS5_iiiiiilllllll.num_named_barrier, 0
	.set _ZN2at6native12_GLOBAL__N_119adaptiveaveragepoolIN3c104HalfEfEEvPKT_PS5_iiiiiilllllll.private_seg_size, 0
	.set _ZN2at6native12_GLOBAL__N_119adaptiveaveragepoolIN3c104HalfEfEEvPKT_PS5_iiiiiilllllll.uses_vcc, 1
	.set _ZN2at6native12_GLOBAL__N_119adaptiveaveragepoolIN3c104HalfEfEEvPKT_PS5_iiiiiilllllll.uses_flat_scratch, 0
	.set _ZN2at6native12_GLOBAL__N_119adaptiveaveragepoolIN3c104HalfEfEEvPKT_PS5_iiiiiilllllll.has_dyn_sized_stack, 0
	.set _ZN2at6native12_GLOBAL__N_119adaptiveaveragepoolIN3c104HalfEfEEvPKT_PS5_iiiiiilllllll.has_recursion, 0
	.set _ZN2at6native12_GLOBAL__N_119adaptiveaveragepoolIN3c104HalfEfEEvPKT_PS5_iiiiiilllllll.has_indirect_call, 0
	.section	.AMDGPU.csdata,"",@progbits
; Kernel info:
; codeLenInByte = 7932
; TotalNumSgprs: 58
; NumVgprs: 30
; ScratchSize: 0
; MemoryBound: 0
; FloatMode: 240
; IeeeMode: 1
; LDSByteSize: 0 bytes/workgroup (compile time only)
; SGPRBlocks: 0
; VGPRBlocks: 1
; NumSGPRsForWavesPerEU: 58
; NumVGPRsForWavesPerEU: 30
; NamedBarCnt: 0
; Occupancy: 16
; WaveLimiterHint : 0
; COMPUTE_PGM_RSRC2:SCRATCH_EN: 0
; COMPUTE_PGM_RSRC2:USER_SGPR: 2
; COMPUTE_PGM_RSRC2:TRAP_HANDLER: 0
; COMPUTE_PGM_RSRC2:TGID_X_EN: 1
; COMPUTE_PGM_RSRC2:TGID_Y_EN: 1
; COMPUTE_PGM_RSRC2:TGID_Z_EN: 0
; COMPUTE_PGM_RSRC2:TIDIG_COMP_CNT: 1
	.section	.text._ZN2at6native12_GLOBAL__N_119adaptiveaveragepoolIN3c108BFloat16EfEEvPKT_PS5_iiiiiilllllll,"axG",@progbits,_ZN2at6native12_GLOBAL__N_119adaptiveaveragepoolIN3c108BFloat16EfEEvPKT_PS5_iiiiiilllllll,comdat
	.globl	_ZN2at6native12_GLOBAL__N_119adaptiveaveragepoolIN3c108BFloat16EfEEvPKT_PS5_iiiiiilllllll ; -- Begin function _ZN2at6native12_GLOBAL__N_119adaptiveaveragepoolIN3c108BFloat16EfEEvPKT_PS5_iiiiiilllllll
	.p2align	8
	.type	_ZN2at6native12_GLOBAL__N_119adaptiveaveragepoolIN3c108BFloat16EfEEvPKT_PS5_iiiiiilllllll,@function
_ZN2at6native12_GLOBAL__N_119adaptiveaveragepoolIN3c108BFloat16EfEEvPKT_PS5_iiiiiilllllll: ; @_ZN2at6native12_GLOBAL__N_119adaptiveaveragepoolIN3c108BFloat16EfEEvPKT_PS5_iiiiiilllllll
; %bb.0:
	s_clause 0x2
	s_load_b64 s[2:3], s[0:1], 0x58
	s_load_b128 s[12:15], s[0:1], 0x10
	s_load_b64 s[20:21], s[0:1], 0x20
	s_bfe_u32 s4, ttmp6, 0x4000c
	s_and_b32 s5, ttmp6, 15
	s_add_co_i32 s4, s4, 1
	s_getreg_b32 s28, hwreg(HW_REG_IB_STS2, 6, 4)
	s_mul_i32 s4, ttmp9, s4
	s_mov_b32 s7, 0
	s_add_co_i32 s5, s5, s4
	s_cmp_eq_u32 s28, 0
	s_cselect_b32 s6, ttmp9, s5
	s_wait_kmcnt 0x0
	s_add_nc_u64 s[2:3], s[2:3], s[6:7]
	s_ashr_i32 s5, s15, 31
	s_mov_b32 s4, s15
	s_delay_alu instid0(SALU_CYCLE_1) | instskip(NEXT) | instid1(SALU_CYCLE_1)
	s_or_b64 s[8:9], s[2:3], s[4:5]
	s_and_b64 s[8:9], s[8:9], 0xffffffff00000000
	s_delay_alu instid0(SALU_CYCLE_1)
	s_cmp_lg_u64 s[8:9], 0
	s_cbranch_scc0 .LBB3_55
; %bb.1:
	s_ashr_i32 s8, s5, 31
	s_delay_alu instid0(SALU_CYCLE_1) | instskip(NEXT) | instid1(SALU_CYCLE_1)
	s_mov_b32 s9, s8
	s_add_nc_u64 s[10:11], s[4:5], s[8:9]
	s_delay_alu instid0(SALU_CYCLE_1) | instskip(NEXT) | instid1(SALU_CYCLE_1)
	s_xor_b64 s[10:11], s[10:11], s[8:9]
	s_cvt_f32_u32 s6, s10
	s_cvt_f32_u32 s15, s11
	s_sub_nc_u64 s[18:19], 0, s[10:11]
	s_delay_alu instid0(SALU_CYCLE_2) | instskip(NEXT) | instid1(SALU_CYCLE_3)
	s_fmamk_f32 s6, s15, 0x4f800000, s6
	v_s_rcp_f32 s6, s6
	s_delay_alu instid0(TRANS32_DEP_1) | instskip(NEXT) | instid1(SALU_CYCLE_3)
	s_mul_f32 s6, s6, 0x5f7ffffc
	s_mul_f32 s15, s6, 0x2f800000
	s_delay_alu instid0(SALU_CYCLE_3) | instskip(NEXT) | instid1(SALU_CYCLE_3)
	s_trunc_f32 s15, s15
	s_fmamk_f32 s6, s15, 0xcf800000, s6
	s_cvt_u32_f32 s17, s15
	s_delay_alu instid0(SALU_CYCLE_2) | instskip(NEXT) | instid1(SALU_CYCLE_3)
	s_cvt_u32_f32 s16, s6
	s_mul_u64 s[22:23], s[18:19], s[16:17]
	s_delay_alu instid0(SALU_CYCLE_1)
	s_mul_hi_u32 s25, s16, s23
	s_mul_i32 s24, s16, s23
	s_mul_hi_u32 s6, s16, s22
	s_mul_i32 s26, s17, s22
	s_add_nc_u64 s[24:25], s[6:7], s[24:25]
	s_mul_hi_u32 s15, s17, s22
	s_mul_hi_u32 s27, s17, s23
	s_add_co_u32 s6, s24, s26
	s_add_co_ci_u32 s6, s25, s15
	s_mul_i32 s22, s17, s23
	s_add_co_ci_u32 s23, s27, 0
	s_delay_alu instid0(SALU_CYCLE_1) | instskip(NEXT) | instid1(SALU_CYCLE_1)
	s_add_nc_u64 s[22:23], s[6:7], s[22:23]
	s_add_co_u32 s16, s16, s22
	s_cselect_b32 s6, -1, 0
	s_delay_alu instid0(SALU_CYCLE_1) | instskip(SKIP_1) | instid1(SALU_CYCLE_1)
	s_cmp_lg_u32 s6, 0
	s_add_co_ci_u32 s17, s17, s23
	s_mul_u64 s[18:19], s[18:19], s[16:17]
	s_delay_alu instid0(SALU_CYCLE_1)
	s_mul_hi_u32 s23, s16, s19
	s_mul_i32 s22, s16, s19
	s_mul_hi_u32 s6, s16, s18
	s_mul_i32 s24, s17, s18
	s_add_nc_u64 s[22:23], s[6:7], s[22:23]
	s_mul_hi_u32 s15, s17, s18
	s_mul_hi_u32 s25, s17, s19
	s_add_co_u32 s6, s22, s24
	s_add_co_ci_u32 s6, s23, s15
	s_mul_i32 s18, s17, s19
	s_add_co_ci_u32 s19, s25, 0
	s_delay_alu instid0(SALU_CYCLE_1) | instskip(NEXT) | instid1(SALU_CYCLE_1)
	s_add_nc_u64 s[18:19], s[6:7], s[18:19]
	s_add_co_u32 s15, s16, s18
	s_cselect_b32 s6, -1, 0
	s_delay_alu instid0(SALU_CYCLE_1) | instskip(SKIP_2) | instid1(SALU_CYCLE_1)
	s_cmp_lg_u32 s6, 0
	s_add_co_ci_u32 s24, s17, s19
	s_ashr_i32 s16, s3, 31
	s_mov_b32 s17, s16
	s_delay_alu instid0(SALU_CYCLE_1) | instskip(NEXT) | instid1(SALU_CYCLE_1)
	s_add_nc_u64 s[18:19], s[2:3], s[16:17]
	s_xor_b64 s[18:19], s[18:19], s[16:17]
	s_delay_alu instid0(SALU_CYCLE_1)
	s_mul_hi_u32 s23, s18, s24
	s_mul_i32 s22, s18, s24
	s_mul_hi_u32 s6, s18, s15
	s_mul_hi_u32 s26, s19, s15
	s_mul_i32 s15, s19, s15
	s_add_nc_u64 s[22:23], s[6:7], s[22:23]
	s_mul_hi_u32 s25, s19, s24
	s_add_co_u32 s6, s22, s15
	s_add_co_ci_u32 s6, s23, s26
	s_mul_i32 s24, s19, s24
	s_add_co_ci_u32 s25, s25, 0
	s_delay_alu instid0(SALU_CYCLE_1) | instskip(NEXT) | instid1(SALU_CYCLE_1)
	s_add_nc_u64 s[22:23], s[6:7], s[24:25]
	s_and_b64 s[24:25], s[22:23], 0xffffffff00000000
	s_delay_alu instid0(SALU_CYCLE_1) | instskip(NEXT) | instid1(SALU_CYCLE_1)
	s_or_b32 s24, s24, s22
	s_mul_u64 s[22:23], s[10:11], s[24:25]
	s_add_nc_u64 s[30:31], s[24:25], 2
	s_sub_co_u32 s6, s18, s22
	s_cselect_b32 s15, -1, 0
	s_sub_co_i32 s18, s19, s23
	s_cmp_lg_u32 s15, 0
	s_sub_co_ci_u32 s18, s18, s11
	s_sub_co_u32 s22, s6, s10
	s_cselect_b32 s26, -1, 0
	s_delay_alu instid0(SALU_CYCLE_1) | instskip(SKIP_2) | instid1(SALU_CYCLE_1)
	s_cmp_lg_u32 s26, 0
	s_add_nc_u64 s[26:27], s[24:25], 1
	s_sub_co_ci_u32 s18, s18, 0
	s_cmp_ge_u32 s18, s11
	s_cselect_b32 s29, -1, 0
	s_cmp_ge_u32 s22, s10
	s_cselect_b32 s22, -1, 0
	s_cmp_eq_u32 s18, s11
	s_cselect_b32 s18, s22, s29
	s_delay_alu instid0(SALU_CYCLE_1) | instskip(SKIP_4) | instid1(SALU_CYCLE_1)
	s_cmp_lg_u32 s18, 0
	s_cselect_b32 s18, s30, s26
	s_cselect_b32 s22, s31, s27
	s_cmp_lg_u32 s15, 0
	s_sub_co_ci_u32 s15, s19, s23
	s_cmp_ge_u32 s15, s11
	s_cselect_b32 s19, -1, 0
	s_cmp_ge_u32 s6, s10
	s_cselect_b32 s6, -1, 0
	s_cmp_eq_u32 s15, s11
	s_cselect_b32 s6, s6, s19
	s_delay_alu instid0(SALU_CYCLE_1) | instskip(SKIP_3) | instid1(SALU_CYCLE_1)
	s_cmp_lg_u32 s6, 0
	s_cselect_b32 s11, s22, s25
	s_cselect_b32 s10, s18, s24
	s_xor_b64 s[8:9], s[16:17], s[8:9]
	s_xor_b64 s[10:11], s[10:11], s[8:9]
	s_delay_alu instid0(SALU_CYCLE_1)
	s_sub_nc_u64 s[22:23], s[10:11], s[8:9]
	s_and_not1_b32 vcc_lo, exec_lo, s7
	s_cbranch_vccnz .LBB3_3
.LBB3_2:
	v_cvt_f32_u32_e32 v1, s4
	s_sub_co_i32 s7, 0, s4
	s_mov_b32 s23, 0
	s_delay_alu instid0(VALU_DEP_1) | instskip(SKIP_1) | instid1(TRANS32_DEP_1)
	v_rcp_iflag_f32_e32 v1, v1
	v_nop
	v_mul_f32_e32 v1, 0x4f7ffffe, v1
	s_delay_alu instid0(VALU_DEP_1) | instskip(NEXT) | instid1(VALU_DEP_1)
	v_cvt_u32_f32_e32 v1, v1
	v_readfirstlane_b32 s6, v1
	s_mul_i32 s7, s7, s6
	s_delay_alu instid0(SALU_CYCLE_1) | instskip(NEXT) | instid1(SALU_CYCLE_1)
	s_mul_hi_u32 s7, s6, s7
	s_add_co_i32 s6, s6, s7
	s_delay_alu instid0(SALU_CYCLE_1) | instskip(NEXT) | instid1(SALU_CYCLE_1)
	s_mul_hi_u32 s6, s2, s6
	s_mul_i32 s7, s6, s4
	s_add_co_i32 s8, s6, 1
	s_sub_co_i32 s7, s2, s7
	s_delay_alu instid0(SALU_CYCLE_1)
	s_sub_co_i32 s9, s7, s4
	s_cmp_ge_u32 s7, s4
	s_cselect_b32 s6, s8, s6
	s_cselect_b32 s7, s9, s7
	s_add_co_i32 s8, s6, 1
	s_cmp_ge_u32 s7, s4
	s_cselect_b32 s22, s8, s6
.LBB3_3:
	s_abs_i32 s8, s4
	s_ashr_i32 s25, s12, 31
	s_cvt_f32_u32 s6, s8
	s_sub_co_i32 s10, 0, s8
	s_mov_b32 s24, s12
	s_delay_alu instid0(SALU_CYCLE_1) | instskip(SKIP_1) | instid1(TRANS32_DEP_1)
	v_rcp_iflag_f32_e32 v1, s6
	v_nop
	v_readfirstlane_b32 s6, v1
	s_mul_f32 s6, s6, 0x4f7ffffe
	s_delay_alu instid0(SALU_CYCLE_3) | instskip(SKIP_1) | instid1(SALU_CYCLE_1)
	s_cvt_u32_f32 s9, s6
	s_mul_u64 s[6:7], s[22:23], s[4:5]
	s_sub_nc_u64 s[6:7], s[2:3], s[6:7]
	s_delay_alu instid0(SALU_CYCLE_1) | instskip(SKIP_2) | instid1(SALU_CYCLE_1)
	s_mul_i32 s10, s10, s9
	s_abs_i32 s11, s6
	s_mul_hi_u32 s10, s9, s10
	s_add_co_i32 s9, s9, s10
	s_xor_b32 s10, s6, s4
	s_mul_hi_u32 s9, s11, s9
	s_ashr_i32 s10, s10, 31
	s_mul_i32 s15, s9, s8
	s_delay_alu instid0(SALU_CYCLE_1)
	s_sub_co_i32 s11, s11, s15
	s_add_co_i32 s15, s9, 1
	s_sub_co_i32 s16, s11, s8
	s_cmp_ge_u32 s11, s8
	s_cselect_b32 s9, s15, s9
	s_cselect_b32 s11, s16, s11
	s_add_co_i32 s15, s9, 1
	s_cmp_ge_u32 s11, s8
	s_cselect_b32 s8, s15, s9
	s_delay_alu instid0(SALU_CYCLE_1) | instskip(NEXT) | instid1(SALU_CYCLE_1)
	s_xor_b32 s8, s8, s10
	s_sub_co_i32 s15, s8, s10
	s_delay_alu instid0(SALU_CYCLE_1) | instskip(NEXT) | instid1(SALU_CYCLE_1)
	s_mul_i32 s8, s15, s4
	s_sub_co_i32 s8, s6, s8
	s_delay_alu instid0(SALU_CYCLE_1) | instskip(NEXT) | instid1(SALU_CYCLE_1)
	s_ashr_i32 s9, s8, 31
	s_mul_u64 s[8:9], s[8:9], s[24:25]
	s_delay_alu instid0(SALU_CYCLE_1) | instskip(NEXT) | instid1(SALU_CYCLE_1)
	s_or_b64 s[10:11], s[8:9], s[4:5]
	s_and_b64 s[10:11], s[10:11], 0xffffffff00000000
	s_delay_alu instid0(SALU_CYCLE_1)
	s_cmp_lg_u64 s[10:11], 0
	s_mov_b32 s11, 0
	s_cbranch_scc0 .LBB3_56
; %bb.4:
	s_ashr_i32 s16, s5, 31
	s_delay_alu instid0(SALU_CYCLE_1) | instskip(NEXT) | instid1(SALU_CYCLE_1)
	s_mov_b32 s17, s16
	s_add_nc_u64 s[18:19], s[4:5], s[16:17]
	s_delay_alu instid0(SALU_CYCLE_1) | instskip(NEXT) | instid1(SALU_CYCLE_1)
	s_xor_b64 s[18:19], s[18:19], s[16:17]
	s_cvt_f32_u32 s10, s18
	s_cvt_f32_u32 s12, s19
	s_sub_nc_u64 s[30:31], 0, s[18:19]
	s_delay_alu instid0(SALU_CYCLE_2) | instskip(NEXT) | instid1(SALU_CYCLE_3)
	s_fmamk_f32 s10, s12, 0x4f800000, s10
	v_s_rcp_f32 s10, s10
	s_delay_alu instid0(TRANS32_DEP_1) | instskip(NEXT) | instid1(SALU_CYCLE_3)
	s_mul_f32 s10, s10, 0x5f7ffffc
	s_mul_f32 s12, s10, 0x2f800000
	s_delay_alu instid0(SALU_CYCLE_3) | instskip(NEXT) | instid1(SALU_CYCLE_3)
	s_trunc_f32 s12, s12
	s_fmamk_f32 s10, s12, 0xcf800000, s10
	s_cvt_u32_f32 s27, s12
	s_delay_alu instid0(SALU_CYCLE_2) | instskip(NEXT) | instid1(SALU_CYCLE_3)
	s_cvt_u32_f32 s26, s10
	s_mul_u64 s[34:35], s[30:31], s[26:27]
	s_delay_alu instid0(SALU_CYCLE_1)
	s_mul_hi_u32 s37, s26, s35
	s_mul_i32 s36, s26, s35
	s_mul_hi_u32 s10, s26, s34
	s_mul_i32 s29, s27, s34
	s_add_nc_u64 s[36:37], s[10:11], s[36:37]
	s_mul_hi_u32 s12, s27, s34
	s_mul_hi_u32 s33, s27, s35
	s_add_co_u32 s10, s36, s29
	s_add_co_ci_u32 s10, s37, s12
	s_mul_i32 s34, s27, s35
	s_add_co_ci_u32 s35, s33, 0
	s_delay_alu instid0(SALU_CYCLE_1) | instskip(NEXT) | instid1(SALU_CYCLE_1)
	s_add_nc_u64 s[34:35], s[10:11], s[34:35]
	s_add_co_u32 s26, s26, s34
	s_cselect_b32 s10, -1, 0
	s_delay_alu instid0(SALU_CYCLE_1) | instskip(SKIP_1) | instid1(SALU_CYCLE_1)
	s_cmp_lg_u32 s10, 0
	s_add_co_ci_u32 s27, s27, s35
	s_mul_u64 s[30:31], s[30:31], s[26:27]
	s_delay_alu instid0(SALU_CYCLE_1)
	s_mul_hi_u32 s35, s26, s31
	s_mul_i32 s34, s26, s31
	s_mul_hi_u32 s10, s26, s30
	s_mul_i32 s29, s27, s30
	s_add_nc_u64 s[34:35], s[10:11], s[34:35]
	s_mul_hi_u32 s12, s27, s30
	s_mul_hi_u32 s33, s27, s31
	s_add_co_u32 s10, s34, s29
	s_add_co_ci_u32 s10, s35, s12
	s_mul_i32 s30, s27, s31
	s_add_co_ci_u32 s31, s33, 0
	s_delay_alu instid0(SALU_CYCLE_1) | instskip(NEXT) | instid1(SALU_CYCLE_1)
	s_add_nc_u64 s[30:31], s[10:11], s[30:31]
	s_add_co_u32 s12, s26, s30
	s_cselect_b32 s10, -1, 0
	s_delay_alu instid0(SALU_CYCLE_1) | instskip(SKIP_2) | instid1(SALU_CYCLE_1)
	s_cmp_lg_u32 s10, 0
	s_add_co_ci_u32 s29, s27, s31
	s_ashr_i32 s26, s9, 31
	s_mov_b32 s27, s26
	s_delay_alu instid0(SALU_CYCLE_1) | instskip(NEXT) | instid1(SALU_CYCLE_1)
	s_add_nc_u64 s[30:31], s[8:9], s[26:27]
	s_xor_b64 s[30:31], s[30:31], s[26:27]
	s_delay_alu instid0(SALU_CYCLE_1)
	s_mul_hi_u32 s35, s30, s29
	s_mul_i32 s34, s30, s29
	s_mul_hi_u32 s10, s30, s12
	s_mul_hi_u32 s33, s31, s12
	s_mul_i32 s12, s31, s12
	s_add_nc_u64 s[34:35], s[10:11], s[34:35]
	s_mul_hi_u32 s9, s31, s29
	s_add_co_u32 s10, s34, s12
	s_add_co_ci_u32 s10, s35, s33
	s_mul_i32 s36, s31, s29
	s_add_co_ci_u32 s37, s9, 0
	s_delay_alu instid0(SALU_CYCLE_1) | instskip(NEXT) | instid1(SALU_CYCLE_1)
	s_add_nc_u64 s[34:35], s[10:11], s[36:37]
	s_and_b64 s[36:37], s[34:35], 0xffffffff00000000
	s_delay_alu instid0(SALU_CYCLE_1) | instskip(NEXT) | instid1(SALU_CYCLE_1)
	s_or_b32 s36, s36, s34
	s_mul_u64 s[34:35], s[18:19], s[36:37]
	s_add_nc_u64 s[38:39], s[36:37], 1
	s_sub_co_u32 s9, s30, s34
	s_cselect_b32 s10, -1, 0
	s_sub_co_i32 s12, s31, s35
	s_cmp_lg_u32 s10, 0
	s_add_nc_u64 s[40:41], s[36:37], 2
	s_sub_co_ci_u32 s12, s12, s19
	s_sub_co_u32 s29, s9, s18
	s_cselect_b32 s30, -1, 0
	s_delay_alu instid0(SALU_CYCLE_1) | instskip(SKIP_1) | instid1(SALU_CYCLE_1)
	s_cmp_lg_u32 s30, 0
	s_sub_co_ci_u32 s12, s12, 0
	s_cmp_ge_u32 s12, s19
	s_cselect_b32 s30, -1, 0
	s_cmp_ge_u32 s29, s18
	s_cselect_b32 s29, -1, 0
	s_cmp_eq_u32 s12, s19
	s_cselect_b32 s12, s29, s30
	s_delay_alu instid0(SALU_CYCLE_1) | instskip(SKIP_4) | instid1(SALU_CYCLE_1)
	s_cmp_lg_u32 s12, 0
	s_cselect_b32 s12, s40, s38
	s_cselect_b32 s29, s41, s39
	s_cmp_lg_u32 s10, 0
	s_sub_co_ci_u32 s10, s31, s35
	s_cmp_ge_u32 s10, s19
	s_cselect_b32 s30, -1, 0
	s_cmp_ge_u32 s9, s18
	s_cselect_b32 s9, -1, 0
	s_cmp_eq_u32 s10, s19
	s_cselect_b32 s9, s9, s30
	s_delay_alu instid0(SALU_CYCLE_1) | instskip(SKIP_3) | instid1(SALU_CYCLE_1)
	s_cmp_lg_u32 s9, 0
	s_cselect_b32 s19, s29, s37
	s_cselect_b32 s18, s12, s36
	s_xor_b64 s[16:17], s[26:27], s[16:17]
	s_xor_b64 s[18:19], s[18:19], s[16:17]
	s_delay_alu instid0(SALU_CYCLE_1)
	s_sub_nc_u64 s[26:27], s[18:19], s[16:17]
	s_and_not1_b32 vcc_lo, exec_lo, s11
	s_cbranch_vccnz .LBB3_6
.LBB3_5:
	v_cvt_f32_u32_e32 v1, s4
	s_sub_co_i32 s10, 0, s4
	s_delay_alu instid0(VALU_DEP_1) | instskip(SKIP_1) | instid1(TRANS32_DEP_1)
	v_rcp_iflag_f32_e32 v1, v1
	v_nop
	v_mul_f32_e32 v1, 0x4f7ffffe, v1
	s_delay_alu instid0(VALU_DEP_1) | instskip(NEXT) | instid1(VALU_DEP_1)
	v_cvt_u32_f32_e32 v1, v1
	v_readfirstlane_b32 s9, v1
	s_mul_i32 s10, s10, s9
	s_delay_alu instid0(SALU_CYCLE_1) | instskip(NEXT) | instid1(SALU_CYCLE_1)
	s_mul_hi_u32 s10, s9, s10
	s_add_co_i32 s9, s9, s10
	s_delay_alu instid0(SALU_CYCLE_1) | instskip(NEXT) | instid1(SALU_CYCLE_1)
	s_mul_hi_u32 s9, s8, s9
	s_mul_i32 s10, s9, s4
	s_delay_alu instid0(SALU_CYCLE_1)
	s_sub_co_i32 s8, s8, s10
	s_add_co_i32 s10, s9, 1
	s_sub_co_i32 s11, s8, s4
	s_cmp_ge_u32 s8, s4
	s_cselect_b32 s9, s10, s9
	s_cselect_b32 s8, s11, s8
	s_add_co_i32 s10, s9, 1
	s_cmp_ge_u32 s8, s4
	s_cselect_b32 s26, s10, s9
.LBB3_6:
	s_add_nc_u64 s[6:7], s[6:7], 1
	s_delay_alu instid0(SALU_CYCLE_1) | instskip(NEXT) | instid1(SALU_CYCLE_1)
	s_mul_u64 s[6:7], s[6:7], s[24:25]
	s_add_nc_u64 s[6:7], s[6:7], -1
	s_delay_alu instid0(SALU_CYCLE_1) | instskip(NEXT) | instid1(SALU_CYCLE_1)
	s_or_b64 s[8:9], s[6:7], s[4:5]
	s_and_b64 s[8:9], s[8:9], 0xffffffff00000000
	s_delay_alu instid0(SALU_CYCLE_1)
	s_cmp_lg_u64 s[8:9], 0
	s_cbranch_scc0 .LBB3_57
; %bb.7:
	s_ashr_i32 s8, s5, 31
	s_delay_alu instid0(SALU_CYCLE_1) | instskip(NEXT) | instid1(SALU_CYCLE_1)
	s_mov_b32 s9, s8
	s_add_nc_u64 s[10:11], s[4:5], s[8:9]
	s_delay_alu instid0(SALU_CYCLE_1) | instskip(SKIP_4) | instid1(SALU_CYCLE_2)
	s_xor_b64 s[16:17], s[10:11], s[8:9]
	s_mov_b32 s11, 0
	s_cvt_f32_u32 s5, s16
	s_cvt_f32_u32 s10, s17
	s_sub_nc_u64 s[30:31], 0, s[16:17]
	s_fmamk_f32 s5, s10, 0x4f800000, s5
	s_delay_alu instid0(SALU_CYCLE_3) | instskip(NEXT) | instid1(TRANS32_DEP_1)
	v_s_rcp_f32 s5, s5
	s_mul_f32 s5, s5, 0x5f7ffffc
	s_delay_alu instid0(SALU_CYCLE_3) | instskip(NEXT) | instid1(SALU_CYCLE_3)
	s_mul_f32 s10, s5, 0x2f800000
	s_trunc_f32 s10, s10
	s_delay_alu instid0(SALU_CYCLE_3) | instskip(SKIP_1) | instid1(SALU_CYCLE_2)
	s_fmamk_f32 s5, s10, 0xcf800000, s5
	s_cvt_u32_f32 s19, s10
	s_cvt_u32_f32 s18, s5
	s_delay_alu instid0(SALU_CYCLE_3) | instskip(NEXT) | instid1(SALU_CYCLE_1)
	s_mul_u64 s[34:35], s[30:31], s[18:19]
	s_mul_hi_u32 s37, s18, s35
	s_mul_i32 s36, s18, s35
	s_mul_hi_u32 s10, s18, s34
	s_mul_i32 s12, s19, s34
	s_add_nc_u64 s[36:37], s[10:11], s[36:37]
	s_mul_hi_u32 s5, s19, s34
	s_mul_hi_u32 s25, s19, s35
	s_add_co_u32 s10, s36, s12
	s_add_co_ci_u32 s10, s37, s5
	s_mul_i32 s34, s19, s35
	s_add_co_ci_u32 s35, s25, 0
	s_delay_alu instid0(SALU_CYCLE_1) | instskip(NEXT) | instid1(SALU_CYCLE_1)
	s_add_nc_u64 s[34:35], s[10:11], s[34:35]
	s_add_co_u32 s18, s18, s34
	s_cselect_b32 s5, -1, 0
	s_delay_alu instid0(SALU_CYCLE_1) | instskip(SKIP_1) | instid1(SALU_CYCLE_1)
	s_cmp_lg_u32 s5, 0
	s_add_co_ci_u32 s19, s19, s35
	s_mul_u64 s[30:31], s[30:31], s[18:19]
	s_delay_alu instid0(SALU_CYCLE_1)
	s_mul_hi_u32 s35, s18, s31
	s_mul_i32 s34, s18, s31
	s_mul_hi_u32 s10, s18, s30
	s_mul_i32 s12, s19, s30
	s_add_nc_u64 s[34:35], s[10:11], s[34:35]
	s_mul_hi_u32 s5, s19, s30
	s_mul_hi_u32 s25, s19, s31
	s_add_co_u32 s10, s34, s12
	s_add_co_ci_u32 s10, s35, s5
	s_mul_i32 s30, s19, s31
	s_add_co_ci_u32 s31, s25, 0
	s_delay_alu instid0(SALU_CYCLE_1) | instskip(NEXT) | instid1(SALU_CYCLE_1)
	s_add_nc_u64 s[30:31], s[10:11], s[30:31]
	s_add_co_u32 s5, s18, s30
	s_cselect_b32 s10, -1, 0
	s_delay_alu instid0(SALU_CYCLE_1) | instskip(SKIP_2) | instid1(SALU_CYCLE_1)
	s_cmp_lg_u32 s10, 0
	s_add_co_ci_u32 s12, s19, s31
	s_ashr_i32 s18, s7, 31
	s_mov_b32 s19, s18
	s_delay_alu instid0(SALU_CYCLE_1) | instskip(NEXT) | instid1(SALU_CYCLE_1)
	s_add_nc_u64 s[30:31], s[6:7], s[18:19]
	s_xor_b64 s[30:31], s[30:31], s[18:19]
	s_delay_alu instid0(SALU_CYCLE_1)
	s_mul_hi_u32 s35, s30, s12
	s_mul_i32 s34, s30, s12
	s_mul_hi_u32 s10, s30, s5
	s_mul_hi_u32 s25, s31, s5
	s_mul_i32 s5, s31, s5
	s_add_nc_u64 s[34:35], s[10:11], s[34:35]
	s_mul_hi_u32 s7, s31, s12
	s_add_co_u32 s5, s34, s5
	s_add_co_ci_u32 s10, s35, s25
	s_mul_i32 s36, s31, s12
	s_add_co_ci_u32 s37, s7, 0
	s_delay_alu instid0(SALU_CYCLE_1) | instskip(NEXT) | instid1(SALU_CYCLE_1)
	s_add_nc_u64 s[34:35], s[10:11], s[36:37]
	s_and_b64 s[36:37], s[34:35], 0xffffffff00000000
	s_delay_alu instid0(SALU_CYCLE_1) | instskip(NEXT) | instid1(SALU_CYCLE_1)
	s_or_b32 s36, s36, s34
	s_mul_u64 s[34:35], s[16:17], s[36:37]
	s_add_nc_u64 s[38:39], s[36:37], 1
	s_sub_co_u32 s5, s30, s34
	s_cselect_b32 s7, -1, 0
	s_sub_co_i32 s10, s31, s35
	s_cmp_lg_u32 s7, 0
	s_add_nc_u64 s[40:41], s[36:37], 2
	s_sub_co_ci_u32 s10, s10, s17
	s_sub_co_u32 s12, s5, s16
	s_cselect_b32 s25, -1, 0
	s_delay_alu instid0(SALU_CYCLE_1) | instskip(SKIP_1) | instid1(SALU_CYCLE_1)
	s_cmp_lg_u32 s25, 0
	s_sub_co_ci_u32 s10, s10, 0
	s_cmp_ge_u32 s10, s17
	s_cselect_b32 s25, -1, 0
	s_cmp_ge_u32 s12, s16
	s_cselect_b32 s12, -1, 0
	s_cmp_eq_u32 s10, s17
	s_cselect_b32 s10, s12, s25
	s_delay_alu instid0(SALU_CYCLE_1) | instskip(SKIP_4) | instid1(SALU_CYCLE_1)
	s_cmp_lg_u32 s10, 0
	s_cselect_b32 s10, s40, s38
	s_cselect_b32 s12, s41, s39
	s_cmp_lg_u32 s7, 0
	s_sub_co_ci_u32 s7, s31, s35
	s_cmp_ge_u32 s7, s17
	s_cselect_b32 s25, -1, 0
	s_cmp_ge_u32 s5, s16
	s_cselect_b32 s5, -1, 0
	s_cmp_eq_u32 s7, s17
	s_cselect_b32 s5, s5, s25
	s_delay_alu instid0(SALU_CYCLE_1) | instskip(SKIP_3) | instid1(SALU_CYCLE_1)
	s_cmp_lg_u32 s5, 0
	s_cselect_b32 s17, s12, s37
	s_cselect_b32 s16, s10, s36
	s_xor_b64 s[8:9], s[18:19], s[8:9]
	s_xor_b64 s[16:17], s[16:17], s[8:9]
	s_delay_alu instid0(SALU_CYCLE_1)
	s_sub_nc_u64 s[30:31], s[16:17], s[8:9]
	s_load_b32 s27, s[0:1], 0x6c
	s_cbranch_execnz .LBB3_9
.LBB3_8:
	v_cvt_f32_u32_e32 v1, s4
	s_sub_co_i32 s7, 0, s4
	s_delay_alu instid0(VALU_DEP_1) | instskip(SKIP_1) | instid1(TRANS32_DEP_1)
	v_rcp_iflag_f32_e32 v1, v1
	v_nop
	v_mul_f32_e32 v1, 0x4f7ffffe, v1
	s_delay_alu instid0(VALU_DEP_1) | instskip(NEXT) | instid1(VALU_DEP_1)
	v_cvt_u32_f32_e32 v1, v1
	v_readfirstlane_b32 s5, v1
	s_mul_i32 s7, s7, s5
	s_delay_alu instid0(SALU_CYCLE_1) | instskip(NEXT) | instid1(SALU_CYCLE_1)
	s_mul_hi_u32 s7, s5, s7
	s_add_co_i32 s5, s5, s7
	s_delay_alu instid0(SALU_CYCLE_1) | instskip(NEXT) | instid1(SALU_CYCLE_1)
	s_mul_hi_u32 s5, s6, s5
	s_mul_i32 s7, s5, s4
	s_delay_alu instid0(SALU_CYCLE_1)
	s_sub_co_i32 s6, s6, s7
	s_add_co_i32 s7, s5, 1
	s_sub_co_i32 s8, s6, s4
	s_cmp_ge_u32 s6, s4
	s_cselect_b32 s5, s7, s5
	s_cselect_b32 s6, s8, s6
	s_add_co_i32 s7, s5, 1
	s_cmp_ge_u32 s6, s4
	s_cselect_b32 s30, s7, s5
.LBB3_9:
	s_bfe_u32 s4, ttmp6, 0x40010
	s_bfe_u32 s5, ttmp6, 0x40004
	s_add_co_i32 s4, s4, 1
	s_wait_kmcnt 0x0
	s_lshr_b32 s12, s27, 16
	s_mul_i32 s4, ttmp7, s4
	v_bfe_u32 v1, v0, 10, 10
	s_add_co_i32 s5, s5, s4
	s_cmp_eq_u32 s28, 0
	s_cselect_b32 s4, ttmp7, s5
	s_delay_alu instid0(VALU_DEP_1) | instid1(SALU_CYCLE_1)
	v_mad_u32 v2, s4, s12, v1
	s_mov_b32 s4, exec_lo
	s_delay_alu instid0(VALU_DEP_1)
	v_cmpx_gt_i32_e64 s20, v2
	s_cbranch_execz .LBB3_54
; %bb.10:
	s_clause 0x1
	s_load_b256 s[4:11], s[0:1], 0x28
	s_load_b128 s[16:19], s[0:1], 0x48
	s_bfe_i64 s[28:29], s[22:23], 0x200000
	s_wait_kmcnt 0x0
	s_or_b64 s[34:35], s[28:29], s[4:5]
	s_delay_alu instid0(SALU_CYCLE_1) | instskip(NEXT) | instid1(SALU_CYCLE_1)
	s_and_b64 s[34:35], s[34:35], 0xffffffff00000000
	s_cmp_lg_u64 s[34:35], 0
	s_cbranch_scc0 .LBB3_58
; %bb.11:
	s_ashr_i32 s34, s5, 31
	s_delay_alu instid0(SALU_CYCLE_1) | instskip(NEXT) | instid1(SALU_CYCLE_1)
	s_mov_b32 s35, s34
	s_add_nc_u64 s[36:37], s[4:5], s[34:35]
	s_delay_alu instid0(SALU_CYCLE_1) | instskip(SKIP_4) | instid1(SALU_CYCLE_2)
	s_xor_b64 s[38:39], s[36:37], s[34:35]
	s_mov_b32 s37, 0
	s_cvt_f32_u32 s23, s38
	s_cvt_f32_u32 s25, s39
	s_sub_nc_u64 s[42:43], 0, s[38:39]
	s_fmamk_f32 s23, s25, 0x4f800000, s23
	s_delay_alu instid0(SALU_CYCLE_3) | instskip(NEXT) | instid1(TRANS32_DEP_1)
	v_s_rcp_f32 s23, s23
	s_mul_f32 s23, s23, 0x5f7ffffc
	s_delay_alu instid0(SALU_CYCLE_3) | instskip(NEXT) | instid1(SALU_CYCLE_3)
	s_mul_f32 s25, s23, 0x2f800000
	s_trunc_f32 s25, s25
	s_delay_alu instid0(SALU_CYCLE_3) | instskip(SKIP_1) | instid1(SALU_CYCLE_2)
	s_fmamk_f32 s23, s25, 0xcf800000, s23
	s_cvt_u32_f32 s41, s25
	s_cvt_u32_f32 s40, s23
	s_delay_alu instid0(SALU_CYCLE_3) | instskip(NEXT) | instid1(SALU_CYCLE_1)
	s_mul_u64 s[44:45], s[42:43], s[40:41]
	s_mul_hi_u32 s47, s40, s45
	s_mul_i32 s46, s40, s45
	s_mul_hi_u32 s36, s40, s44
	s_mul_i32 s25, s41, s44
	s_add_nc_u64 s[46:47], s[36:37], s[46:47]
	s_mul_hi_u32 s23, s41, s44
	s_mul_hi_u32 s31, s41, s45
	s_add_co_u32 s25, s46, s25
	s_add_co_ci_u32 s36, s47, s23
	s_mul_i32 s44, s41, s45
	s_add_co_ci_u32 s45, s31, 0
	s_delay_alu instid0(SALU_CYCLE_1) | instskip(NEXT) | instid1(SALU_CYCLE_1)
	s_add_nc_u64 s[44:45], s[36:37], s[44:45]
	s_add_co_u32 s40, s40, s44
	s_cselect_b32 s23, -1, 0
	s_delay_alu instid0(SALU_CYCLE_1) | instskip(SKIP_1) | instid1(SALU_CYCLE_1)
	s_cmp_lg_u32 s23, 0
	s_add_co_ci_u32 s41, s41, s45
	s_mul_u64 s[42:43], s[42:43], s[40:41]
	s_delay_alu instid0(SALU_CYCLE_1)
	s_mul_hi_u32 s45, s40, s43
	s_mul_i32 s44, s40, s43
	s_mul_hi_u32 s36, s40, s42
	s_mul_i32 s25, s41, s42
	s_add_nc_u64 s[44:45], s[36:37], s[44:45]
	s_mul_hi_u32 s23, s41, s42
	s_mul_hi_u32 s31, s41, s43
	s_add_co_u32 s25, s44, s25
	s_add_co_ci_u32 s36, s45, s23
	s_mul_i32 s42, s41, s43
	s_add_co_ci_u32 s43, s31, 0
	s_delay_alu instid0(SALU_CYCLE_1) | instskip(NEXT) | instid1(SALU_CYCLE_1)
	s_add_nc_u64 s[42:43], s[36:37], s[42:43]
	s_add_co_u32 s23, s40, s42
	s_cselect_b32 s25, -1, 0
	s_delay_alu instid0(SALU_CYCLE_1) | instskip(SKIP_2) | instid1(SALU_CYCLE_1)
	s_cmp_lg_u32 s25, 0
	s_add_co_ci_u32 s25, s41, s43
	s_ashr_i32 s40, s29, 31
	s_mov_b32 s41, s40
	s_delay_alu instid0(SALU_CYCLE_1) | instskip(NEXT) | instid1(SALU_CYCLE_1)
	s_add_nc_u64 s[42:43], s[28:29], s[40:41]
	s_xor_b64 s[42:43], s[42:43], s[40:41]
	s_delay_alu instid0(SALU_CYCLE_1)
	s_mul_hi_u32 s45, s42, s25
	s_mul_i32 s44, s42, s25
	s_mul_hi_u32 s36, s42, s23
	s_mul_hi_u32 s33, s43, s23
	s_mul_i32 s23, s43, s23
	s_add_nc_u64 s[44:45], s[36:37], s[44:45]
	s_mul_hi_u32 s31, s43, s25
	s_add_co_u32 s23, s44, s23
	s_add_co_ci_u32 s36, s45, s33
	s_mul_i32 s46, s43, s25
	s_add_co_ci_u32 s47, s31, 0
	s_delay_alu instid0(SALU_CYCLE_1) | instskip(NEXT) | instid1(SALU_CYCLE_1)
	s_add_nc_u64 s[44:45], s[36:37], s[46:47]
	s_and_b64 s[46:47], s[44:45], 0xffffffff00000000
	s_delay_alu instid0(SALU_CYCLE_1) | instskip(NEXT) | instid1(SALU_CYCLE_1)
	s_or_b32 s46, s46, s44
	s_mul_u64 s[44:45], s[38:39], s[46:47]
	s_add_nc_u64 s[48:49], s[46:47], 1
	s_sub_co_u32 s23, s42, s44
	s_cselect_b32 s25, -1, 0
	s_sub_co_i32 s31, s43, s45
	s_cmp_lg_u32 s25, 0
	s_add_nc_u64 s[50:51], s[46:47], 2
	s_sub_co_ci_u32 s31, s31, s39
	s_sub_co_u32 s33, s23, s38
	s_cselect_b32 s36, -1, 0
	s_delay_alu instid0(SALU_CYCLE_1) | instskip(SKIP_1) | instid1(SALU_CYCLE_1)
	s_cmp_lg_u32 s36, 0
	s_sub_co_ci_u32 s31, s31, 0
	s_cmp_ge_u32 s31, s39
	s_cselect_b32 s36, -1, 0
	s_cmp_ge_u32 s33, s38
	s_cselect_b32 s33, -1, 0
	s_cmp_eq_u32 s31, s39
	s_cselect_b32 s31, s33, s36
	s_delay_alu instid0(SALU_CYCLE_1) | instskip(SKIP_4) | instid1(SALU_CYCLE_1)
	s_cmp_lg_u32 s31, 0
	s_cselect_b32 s31, s50, s48
	s_cselect_b32 s33, s51, s49
	s_cmp_lg_u32 s25, 0
	s_sub_co_ci_u32 s25, s43, s45
	s_cmp_ge_u32 s25, s39
	s_cselect_b32 s36, -1, 0
	s_cmp_ge_u32 s23, s38
	s_cselect_b32 s23, -1, 0
	s_cmp_eq_u32 s25, s39
	s_cselect_b32 s23, s23, s36
	s_delay_alu instid0(SALU_CYCLE_1) | instskip(SKIP_3) | instid1(SALU_CYCLE_1)
	s_cmp_lg_u32 s23, 0
	s_cselect_b32 s39, s33, s47
	s_cselect_b32 s38, s31, s46
	s_xor_b64 s[34:35], s[40:41], s[34:35]
	s_xor_b64 s[38:39], s[38:39], s[34:35]
	s_delay_alu instid0(SALU_CYCLE_1)
	s_sub_nc_u64 s[34:35], s[38:39], s[34:35]
	s_load_b32 s41, s[0:1], 0x64
	s_cbranch_execnz .LBB3_13
.LBB3_12:
	v_cvt_f32_u32_e32 v1, s4
	s_sub_co_i32 s25, 0, s4
	s_mov_b32 s35, 0
	s_delay_alu instid0(VALU_DEP_1) | instskip(SKIP_1) | instid1(TRANS32_DEP_1)
	v_rcp_iflag_f32_e32 v1, v1
	v_nop
	v_mul_f32_e32 v1, 0x4f7ffffe, v1
	s_delay_alu instid0(VALU_DEP_1) | instskip(NEXT) | instid1(VALU_DEP_1)
	v_cvt_u32_f32_e32 v1, v1
	v_readfirstlane_b32 s23, v1
	s_mul_i32 s25, s25, s23
	s_delay_alu instid0(SALU_CYCLE_1) | instskip(NEXT) | instid1(SALU_CYCLE_1)
	s_mul_hi_u32 s25, s23, s25
	s_add_co_i32 s23, s23, s25
	s_delay_alu instid0(SALU_CYCLE_1) | instskip(NEXT) | instid1(SALU_CYCLE_1)
	s_mul_hi_u32 s23, s22, s23
	s_mul_i32 s25, s23, s4
	s_delay_alu instid0(SALU_CYCLE_1)
	s_sub_co_i32 s22, s22, s25
	s_add_co_i32 s25, s23, 1
	s_sub_co_i32 s31, s22, s4
	s_cmp_ge_u32 s22, s4
	s_cselect_b32 s23, s25, s23
	s_cselect_b32 s22, s31, s22
	s_add_co_i32 s25, s23, 1
	s_cmp_ge_u32 s22, s4
	s_cselect_b32 s34, s25, s23
.LBB3_13:
	s_mul_i32 s15, s15, s24
	s_ashr_i32 s23, s20, 31
	s_mov_b32 s22, s20
	s_ashr_i32 s25, s21, 31
	s_mov_b32 s24, s21
	s_add_co_i32 s33, s26, s15
	s_mul_u64 s[36:37], s[24:25], s[22:23]
	s_sub_co_i32 s15, s30, s33
	s_mul_u64 s[2:3], s[36:37], s[2:3]
	s_add_co_i32 s36, s15, 1
	s_lshl_b64 s[2:3], s[2:3], 1
	s_and_b32 s37, s27, 0xffff
	s_ashr_i32 s27, s13, 31
	s_ashr_i32 s15, s14, 31
	s_cmp_gt_i32 s36, 0
	v_cvt_f32_u32_e32 v1, s22
	s_cselect_b32 s38, -1, 0
	s_ashr_i32 s39, s20, 31
	s_load_b128 s[44:47], s[0:1], 0x0
	s_add_co_i32 s26, s20, s39
	v_rcp_iflag_f32_e32 v1, v1
	s_xor_b32 s40, s26, s39
	s_sub_co_i32 s26, 0, s20
	v_cvt_f32_u32_e32 v3, s40
	s_sub_co_i32 s30, 0, s40
	v_and_b32_e32 v14, 0x3ff, v0
	s_wait_xcnt 0x0
	s_mul_u64 s[0:1], s[34:35], s[4:5]
	v_mul_f32_e32 v1, 0x4f7ffffe, v1
	v_rcp_iflag_f32_e32 v3, v3
	s_sub_nc_u64 s[0:1], s[28:29], s[0:1]
	s_bfe_i64 s[28:29], s[34:35], 0x200000
	s_mul_u64 s[8:9], s[0:1], s[8:9]
	v_cvt_u32_f32_e32 v4, v1
	s_mul_u64 s[6:7], s[28:29], s[6:7]
	v_cmp_gt_i32_e64 s0, s21, v14
	v_mul_f32_e32 v3, 0x4f7ffffe, v3
	s_lshl_b64 s[28:29], s[6:7], 1
	v_mul_lo_u32 v5, s26, v4
	s_lshl_b64 s[8:9], s[8:9], 1
	s_wait_kmcnt 0x0
	s_add_nc_u64 s[6:7], s[46:47], s[2:3]
	v_cvt_u32_f32_e32 v3, v3
	s_add_nc_u64 s[2:3], s[44:45], s[28:29]
	s_mul_i32 s41, s41, s12
	s_mov_b32 s26, s13
	s_mov_b32 s4, 0
	v_mul_lo_u32 v6, s30, v3
	s_mov_b64 s[12:13], 0xffffffff
	s_add_nc_u64 s[8:9], s[2:3], s[8:9]
	v_mul_hi_u32 v0, v4, v5
	s_ashr_i32 s28, s23, 31
	s_mov_b32 s42, 0
	s_delay_alu instid0(VALU_DEP_2) | instskip(NEXT) | instid1(VALU_DEP_2)
	v_mul_hi_u32 v5, v3, v6
	v_dual_mov_b32 v1, 0 :: v_dual_add_nc_u32 v16, v4, v0
	s_delay_alu instid0(VALU_DEP_2)
	v_add_nc_u32_e32 v15, v3, v5
	s_branch .LBB3_15
.LBB3_14:                               ;   in Loop: Header=BB3_15 Depth=1
	s_or_b32 exec_lo, exec_lo, s3
	v_add_nc_u32_e32 v2, s41, v2
	s_delay_alu instid0(VALU_DEP_1) | instskip(SKIP_1) | instid1(SALU_CYCLE_1)
	v_cmp_le_i32_e32 vcc_lo, s20, v2
	s_or_b32 s42, vcc_lo, s42
	s_and_not1_b32 exec_lo, exec_lo, s42
	s_cbranch_execz .LBB3_54
.LBB3_15:                               ; =>This Loop Header: Depth=1
                                        ;     Child Loop BB3_31 Depth 2
                                        ;       Child Loop BB3_47 Depth 3
                                        ;         Child Loop BB3_50 Depth 4
                                        ;           Child Loop BB3_52 Depth 5
	s_delay_alu instid0(VALU_DEP_2) | instskip(NEXT) | instid1(VALU_DEP_1)
	v_dual_mov_b32 v4, v1 :: v_dual_ashrrev_i32 v3, 31, v2
	v_or_b32_e32 v5, s23, v3
	s_delay_alu instid0(VALU_DEP_1) | instskip(SKIP_1) | instid1(SALU_CYCLE_1)
	v_cmp_ne_u64_e32 vcc_lo, 0, v[4:5]
                                        ; implicit-def: $vgpr4_vgpr5
	s_and_saveexec_b32 s1, vcc_lo
	s_xor_b32 s1, exec_lo, s1
	s_cbranch_execz .LBB3_17
; %bb.16:                               ;   in Loop: Header=BB3_15 Depth=1
	v_ashrrev_i32_e32 v0, 31, v2
	s_delay_alu instid0(VALU_DEP_1) | instskip(NEXT) | instid1(VALU_DEP_1)
	v_add_nc_u32_e32 v4, v2, v0
	v_xor_b32_e32 v4, v4, v0
	s_delay_alu instid0(VALU_DEP_1) | instskip(NEXT) | instid1(VALU_DEP_1)
	v_mul_hi_u32 v5, v4, v15
	v_mul_lo_u32 v6, v5, s40
	s_delay_alu instid0(VALU_DEP_1) | instskip(SKIP_1) | instid1(VALU_DEP_2)
	v_dual_sub_nc_u32 v4, v4, v6 :: v_dual_add_nc_u32 v6, 1, v5
	v_xor_b32_e32 v0, s39, v0
	v_subrev_nc_u32_e32 v7, s40, v4
	v_cmp_le_u32_e32 vcc_lo, s40, v4
	s_delay_alu instid0(VALU_DEP_2) | instskip(NEXT) | instid1(VALU_DEP_1)
	v_dual_cndmask_b32 v4, v4, v7 :: v_dual_cndmask_b32 v5, v5, v6
	v_cmp_le_u32_e32 vcc_lo, s40, v4
	s_delay_alu instid0(VALU_DEP_2) | instskip(NEXT) | instid1(VALU_DEP_1)
	v_add_nc_u32_e32 v6, 1, v5
	v_cndmask_b32_e32 v4, v5, v6, vcc_lo
	s_delay_alu instid0(VALU_DEP_1) | instskip(NEXT) | instid1(VALU_DEP_1)
	v_xor_b32_e32 v4, v4, v0
	v_sub_nc_u32_e32 v4, v4, v0
	s_delay_alu instid0(VALU_DEP_1)
	v_ashrrev_i32_e32 v5, 31, v4
.LBB3_17:                               ;   in Loop: Header=BB3_15 Depth=1
	s_and_not1_saveexec_b32 s1, s1
	s_cbranch_execz .LBB3_19
; %bb.18:                               ;   in Loop: Header=BB3_15 Depth=1
	v_mul_hi_u32 v0, v2, v16
	s_delay_alu instid0(VALU_DEP_1) | instskip(SKIP_1) | instid1(VALU_DEP_2)
	v_mul_lo_u32 v4, v0, s22
	v_add_nc_u32_e32 v5, 1, v0
	v_sub_nc_u32_e32 v4, v2, v4
	s_delay_alu instid0(VALU_DEP_1) | instskip(NEXT) | instid1(VALU_DEP_3)
	v_cmp_le_u32_e32 vcc_lo, s22, v4
	v_cndmask_b32_e32 v0, v0, v5, vcc_lo
	v_subrev_nc_u32_e32 v6, s22, v4
	s_delay_alu instid0(VALU_DEP_1) | instskip(NEXT) | instid1(VALU_DEP_1)
	v_dual_cndmask_b32 v4, v4, v6 :: v_dual_add_nc_u32 v5, 1, v0
	v_cmp_le_u32_e32 vcc_lo, s22, v4
	s_delay_alu instid0(VALU_DEP_2) | instskip(NEXT) | instid1(VALU_DEP_1)
	v_cndmask_b32_e32 v0, v0, v5, vcc_lo
	v_mov_b64_e32 v[4:5], v[0:1]
.LBB3_19:                               ;   in Loop: Header=BB3_15 Depth=1
	s_or_b32 exec_lo, exec_lo, s1
	s_delay_alu instid0(VALU_DEP_1) | instskip(NEXT) | instid1(VALU_DEP_1)
	v_mul_u64_e32 v[6:7], s[22:23], v[4:5]
	v_sub_nc_u64_e32 v[6:7], v[2:3], v[6:7]
	s_delay_alu instid0(VALU_DEP_1) | instskip(NEXT) | instid1(VALU_DEP_1)
	v_mul_u64_e32 v[8:9], s[26:27], v[6:7]
	v_dual_mov_b32 v6, v1 :: v_dual_bitop2_b32 v7, s23, v9 bitop3:0x54
	s_delay_alu instid0(VALU_DEP_1) | instskip(SKIP_1) | instid1(SALU_CYCLE_1)
	v_cmp_ne_u64_e32 vcc_lo, 0, v[6:7]
                                        ; implicit-def: $vgpr6_vgpr7
	s_and_saveexec_b32 s1, vcc_lo
	s_xor_b32 s5, exec_lo, s1
	s_cbranch_execz .LBB3_21
; %bb.20:                               ;   in Loop: Header=BB3_15 Depth=1
	s_mov_b32 s29, s28
	s_mov_b32 s45, s4
	s_add_nc_u64 s[2:3], s[22:23], s[28:29]
	s_mov_b32 s49, s4
	s_xor_b64 s[2:3], s[2:3], s[28:29]
	v_dual_mov_b32 v13, v1 :: v_dual_ashrrev_i32 v6, 31, v9
	s_cvt_f32_u32 s1, s2
	s_cvt_f32_u32 s29, s3
	s_sub_nc_u64 s[34:35], 0, s[2:3]
	s_delay_alu instid0(VALU_DEP_1) | instskip(NEXT) | instid1(SALU_CYCLE_1)
	v_mov_b32_e32 v7, v6
	s_fmamk_f32 s1, s29, 0x4f800000, s1
	s_delay_alu instid0(VALU_DEP_1) | instskip(NEXT) | instid1(SALU_CYCLE_2)
	v_add_nc_u64_e32 v[8:9], v[8:9], v[6:7]
	v_s_rcp_f32 s1, s1
	s_delay_alu instid0(VALU_DEP_1) | instskip(NEXT) | instid1(VALU_DEP_2)
	v_xor_b32_e32 v0, v8, v6
	v_xor_b32_e32 v12, v9, v6
	s_delay_alu instid0(TRANS32_DEP_1) | instskip(SKIP_1) | instid1(SALU_CYCLE_2)
	s_mul_f32 s1, s1, 0x5f7ffffc
	v_mov_b32_e32 v21, v1
	s_mul_f32 s29, s1, 0x2f800000
	s_delay_alu instid0(SALU_CYCLE_3) | instskip(NEXT) | instid1(SALU_CYCLE_3)
	s_trunc_f32 s29, s29
	s_fmamk_f32 s1, s29, 0xcf800000, s1
	s_cvt_u32_f32 s31, s29
	s_delay_alu instid0(SALU_CYCLE_2) | instskip(NEXT) | instid1(SALU_CYCLE_3)
	s_cvt_u32_f32 s30, s1
	s_mul_u64 s[46:47], s[34:35], s[30:31]
	s_delay_alu instid0(SALU_CYCLE_1)
	s_mul_hi_u32 s51, s30, s47
	s_mul_i32 s50, s30, s47
	s_mul_hi_u32 s44, s30, s46
	s_mul_i32 s29, s31, s46
	s_add_nc_u64 s[44:45], s[44:45], s[50:51]
	s_mul_hi_u32 s1, s31, s46
	s_mul_hi_u32 s43, s31, s47
	s_add_co_u32 s29, s44, s29
	s_add_co_ci_u32 s48, s45, s1
	s_mul_i32 s46, s31, s47
	s_add_co_ci_u32 s47, s43, 0
	s_delay_alu instid0(SALU_CYCLE_1) | instskip(SKIP_3) | instid1(SALU_CYCLE_1)
	s_add_nc_u64 s[44:45], s[48:49], s[46:47]
	s_mov_b32 s47, s4
	s_add_co_u32 s30, s30, s44
	s_cselect_b32 s1, -1, 0
	s_cmp_lg_u32 s1, 0
	s_add_co_ci_u32 s31, s31, s45
	s_mov_b32 s45, s4
	s_mul_u64 s[34:35], s[34:35], s[30:31]
	s_delay_alu instid0(SALU_CYCLE_1)
	s_mul_hi_u32 s49, s30, s35
	s_mul_i32 s48, s30, s35
	s_mul_hi_u32 s46, s30, s34
	s_mul_i32 s29, s31, s34
	s_add_nc_u64 s[46:47], s[46:47], s[48:49]
	s_mul_hi_u32 s1, s31, s34
	s_mul_hi_u32 s43, s31, s35
	s_add_co_u32 s29, s46, s29
	s_add_co_ci_u32 s44, s47, s1
	s_mul_i32 s34, s31, s35
	s_add_co_ci_u32 s35, s43, 0
	s_delay_alu instid0(SALU_CYCLE_1) | instskip(NEXT) | instid1(SALU_CYCLE_1)
	s_add_nc_u64 s[34:35], s[44:45], s[34:35]
	s_add_co_u32 s30, s30, s34
	s_cselect_b32 s1, -1, 0
	v_mul_hi_u32 v20, v0, s30
	s_cmp_lg_u32 s1, 0
	s_add_co_ci_u32 s44, s31, s35
	s_and_b64 s[34:35], s[30:31], s[12:13]
	v_mul_u64_e32 v[10:11], s[44:45], v[0:1]
	v_mul_u64_e32 v[8:9], s[34:35], v[12:13]
	;; [unrolled: 1-line block ×3, first 2 shown]
	s_delay_alu instid0(VALU_DEP_3) | instskip(NEXT) | instid1(VALU_DEP_1)
	v_add_nc_u64_e32 v[10:11], v[20:21], v[10:11]
	v_add_co_u32 v5, vcc_lo, v10, v8
	s_delay_alu instid0(VALU_DEP_2) | instskip(NEXT) | instid1(VALU_DEP_4)
	v_add_co_ci_u32_e32 v20, vcc_lo, v11, v9, vcc_lo
	v_add_co_ci_u32_e32 v19, vcc_lo, 0, v19, vcc_lo
	s_delay_alu instid0(VALU_DEP_1) | instskip(NEXT) | instid1(VALU_DEP_1)
	v_add_nc_u64_e32 v[8:9], v[20:21], v[18:19]
	v_mul_u64_e32 v[10:11], s[2:3], v[8:9]
	s_delay_alu instid0(VALU_DEP_1) | instskip(NEXT) | instid1(VALU_DEP_2)
	v_sub_nc_u32_e32 v5, v12, v11
	v_sub_co_u32 v0, vcc_lo, v0, v10
	s_delay_alu instid0(VALU_DEP_1) | instskip(NEXT) | instid1(VALU_DEP_3)
	v_sub_co_ci_u32_e64 v17, null, v12, v11, vcc_lo
	v_subrev_co_ci_u32_e64 v5, null, s3, v5, vcc_lo
	s_delay_alu instid0(VALU_DEP_3) | instskip(SKIP_1) | instid1(VALU_DEP_3)
	v_sub_co_u32 v7, s1, v0, s2
	v_add_nc_u64_e32 v[12:13], 1, v[8:9]
	v_subrev_co_ci_u32_e64 v5, null, 0, v5, s1
	s_delay_alu instid0(VALU_DEP_3) | instskip(SKIP_1) | instid1(VALU_DEP_3)
	v_cmp_le_u32_e32 vcc_lo, s2, v7
	v_cndmask_b32_e64 v7, 0, -1, vcc_lo
	v_cmp_le_u32_e32 vcc_lo, s3, v5
	v_cndmask_b32_e64 v10, 0, -1, vcc_lo
	;; [unrolled: 2-line block ×4, first 2 shown]
	v_cmp_eq_u32_e32 vcc_lo, s3, v5
	v_cndmask_b32_e32 v5, v10, v7, vcc_lo
	v_cmp_eq_u32_e32 vcc_lo, s3, v17
	v_add_nc_u64_e32 v[10:11], 2, v[8:9]
	v_cndmask_b32_e32 v0, v18, v0, vcc_lo
	s_delay_alu instid0(VALU_DEP_4) | instskip(NEXT) | instid1(VALU_DEP_3)
	v_cmp_ne_u32_e32 vcc_lo, 0, v5
	v_cndmask_b32_e32 v5, v13, v11, vcc_lo
	s_delay_alu instid0(VALU_DEP_3) | instskip(NEXT) | instid1(VALU_DEP_1)
	v_cmp_ne_u32_e64 s1, 0, v0
	v_dual_cndmask_b32 v0, v12, v10, vcc_lo :: v_dual_cndmask_b32 v5, v9, v5, s1
	s_delay_alu instid0(VALU_DEP_1) | instskip(NEXT) | instid1(VALU_DEP_1)
	v_dual_cndmask_b32 v0, v8, v0, s1 :: v_dual_bitop2_b32 v6, s28, v6 bitop3:0x14
	v_dual_mov_b32 v7, v6 :: v_dual_bitop2_b32 v9, v5, v6 bitop3:0x14
	s_delay_alu instid0(VALU_DEP_2) | instskip(NEXT) | instid1(VALU_DEP_1)
	v_xor_b32_e32 v8, v0, v6
	v_sub_nc_u64_e32 v[6:7], v[8:9], v[6:7]
                                        ; implicit-def: $vgpr8_vgpr9
.LBB3_21:                               ;   in Loop: Header=BB3_15 Depth=1
	s_and_not1_saveexec_b32 s1, s5
	s_cbranch_execz .LBB3_23
; %bb.22:                               ;   in Loop: Header=BB3_15 Depth=1
	s_delay_alu instid0(VALU_DEP_3) | instskip(NEXT) | instid1(VALU_DEP_1)
	v_mul_hi_u32 v0, v8, v16
	v_mul_lo_u32 v5, v0, s22
	s_delay_alu instid0(VALU_DEP_1) | instskip(NEXT) | instid1(VALU_DEP_1)
	v_dual_add_nc_u32 v6, 1, v0 :: v_dual_sub_nc_u32 v5, v8, v5
	v_subrev_nc_u32_e32 v7, s22, v5
	v_cmp_le_u32_e32 vcc_lo, s22, v5
	s_delay_alu instid0(VALU_DEP_2) | instskip(NEXT) | instid1(VALU_DEP_1)
	v_dual_cndmask_b32 v5, v5, v7 :: v_dual_cndmask_b32 v0, v0, v6
	v_cmp_le_u32_e32 vcc_lo, s22, v5
	s_delay_alu instid0(VALU_DEP_2) | instskip(NEXT) | instid1(VALU_DEP_1)
	v_add_nc_u32_e32 v6, 1, v0
	v_cndmask_b32_e32 v6, v0, v6, vcc_lo
.LBB3_23:                               ;   in Loop: Header=BB3_15 Depth=1
	s_or_b32 exec_lo, exec_lo, s1
	v_add_nc_u64_e32 v[10:11], 1, v[2:3]
	s_delay_alu instid0(VALU_DEP_1) | instskip(NEXT) | instid1(VALU_DEP_1)
	v_mad_nc_u64_u32 v[8:9], v10, s26, -1
	v_mad_u32 v0, v11, s26, v9
	s_delay_alu instid0(VALU_DEP_1) | instskip(NEXT) | instid1(VALU_DEP_1)
	v_mad_u32 v9, v10, s27, v0
	v_dual_mov_b32 v10, v1 :: v_dual_bitop2_b32 v11, s23, v9 bitop3:0x54
	s_delay_alu instid0(VALU_DEP_1) | instskip(SKIP_1) | instid1(SALU_CYCLE_1)
	v_cmp_ne_u64_e32 vcc_lo, 0, v[10:11]
                                        ; implicit-def: $vgpr10_vgpr11
	s_and_saveexec_b32 s1, vcc_lo
	s_xor_b32 s5, exec_lo, s1
	s_cbranch_execnz .LBB3_26
; %bb.24:                               ;   in Loop: Header=BB3_15 Depth=1
	s_and_not1_saveexec_b32 s1, s5
	s_cbranch_execnz .LBB3_27
.LBB3_25:                               ;   in Loop: Header=BB3_15 Depth=1
	s_or_b32 exec_lo, exec_lo, s1
	s_and_saveexec_b32 s3, s0
	s_cbranch_execz .LBB3_14
	s_branch .LBB3_28
.LBB3_26:                               ;   in Loop: Header=BB3_15 Depth=1
	s_mov_b32 s29, s28
	s_mov_b32 s45, s4
	s_add_nc_u64 s[2:3], s[22:23], s[28:29]
	s_mov_b32 s49, s4
	s_xor_b64 s[2:3], s[2:3], s[28:29]
	v_dual_mov_b32 v19, v1 :: v_dual_ashrrev_i32 v10, 31, v9
	s_cvt_f32_u32 s1, s2
	s_cvt_f32_u32 s29, s3
	s_sub_nc_u64 s[34:35], 0, s[2:3]
	s_delay_alu instid0(VALU_DEP_1) | instskip(NEXT) | instid1(SALU_CYCLE_1)
	v_mov_b32_e32 v11, v10
	s_fmamk_f32 s1, s29, 0x4f800000, s1
	s_delay_alu instid0(VALU_DEP_1) | instskip(NEXT) | instid1(SALU_CYCLE_2)
	v_add_nc_u64_e32 v[8:9], v[8:9], v[10:11]
	v_s_rcp_f32 s1, s1
	s_delay_alu instid0(VALU_DEP_1) | instskip(NEXT) | instid1(VALU_DEP_2)
	v_xor_b32_e32 v0, v8, v10
	v_xor_b32_e32 v18, v9, v10
	s_delay_alu instid0(TRANS32_DEP_1) | instskip(SKIP_1) | instid1(SALU_CYCLE_2)
	s_mul_f32 s1, s1, 0x5f7ffffc
	v_dual_mov_b32 v23, v1 :: v_dual_bitop2_b32 v10, s28, v10 bitop3:0x14
	s_mul_f32 s29, s1, 0x2f800000
	s_delay_alu instid0(SALU_CYCLE_3) | instskip(NEXT) | instid1(SALU_CYCLE_3)
	s_trunc_f32 s29, s29
	s_fmamk_f32 s1, s29, 0xcf800000, s1
	s_cvt_u32_f32 s31, s29
	s_delay_alu instid0(SALU_CYCLE_2) | instskip(NEXT) | instid1(SALU_CYCLE_3)
	s_cvt_u32_f32 s30, s1
	s_mul_u64 s[46:47], s[34:35], s[30:31]
	s_delay_alu instid0(SALU_CYCLE_1)
	s_mul_hi_u32 s51, s30, s47
	s_mul_i32 s50, s30, s47
	s_mul_hi_u32 s44, s30, s46
	s_mul_i32 s29, s31, s46
	s_add_nc_u64 s[44:45], s[44:45], s[50:51]
	s_mul_hi_u32 s1, s31, s46
	s_mul_hi_u32 s43, s31, s47
	s_add_co_u32 s29, s44, s29
	s_add_co_ci_u32 s48, s45, s1
	s_mul_i32 s46, s31, s47
	s_add_co_ci_u32 s47, s43, 0
	s_delay_alu instid0(SALU_CYCLE_1) | instskip(SKIP_3) | instid1(SALU_CYCLE_1)
	s_add_nc_u64 s[44:45], s[48:49], s[46:47]
	s_mov_b32 s47, s4
	s_add_co_u32 s30, s30, s44
	s_cselect_b32 s1, -1, 0
	s_cmp_lg_u32 s1, 0
	s_add_co_ci_u32 s31, s31, s45
	s_mov_b32 s45, s4
	s_mul_u64 s[34:35], s[34:35], s[30:31]
	s_delay_alu instid0(SALU_CYCLE_1)
	s_mul_hi_u32 s49, s30, s35
	s_mul_i32 s48, s30, s35
	s_mul_hi_u32 s46, s30, s34
	s_mul_i32 s29, s31, s34
	s_add_nc_u64 s[46:47], s[46:47], s[48:49]
	s_mul_hi_u32 s1, s31, s34
	s_mul_hi_u32 s43, s31, s35
	s_add_co_u32 s29, s46, s29
	s_add_co_ci_u32 s44, s47, s1
	s_mul_i32 s34, s31, s35
	s_add_co_ci_u32 s35, s43, 0
	s_delay_alu instid0(SALU_CYCLE_1) | instskip(NEXT) | instid1(SALU_CYCLE_1)
	s_add_nc_u64 s[34:35], s[44:45], s[34:35]
	s_add_co_u32 s30, s30, s34
	s_cselect_b32 s1, -1, 0
	v_mul_hi_u32 v22, v0, s30
	s_cmp_lg_u32 s1, 0
	s_add_co_ci_u32 s44, s31, s35
	s_and_b64 s[34:35], s[30:31], s[12:13]
	v_mul_u64_e32 v[12:13], s[44:45], v[0:1]
	v_mul_u64_e32 v[8:9], s[34:35], v[18:19]
	;; [unrolled: 1-line block ×3, first 2 shown]
	s_delay_alu instid0(VALU_DEP_3) | instskip(NEXT) | instid1(VALU_DEP_1)
	v_add_nc_u64_e32 v[12:13], v[22:23], v[12:13]
	v_add_co_u32 v3, vcc_lo, v12, v8
	s_delay_alu instid0(VALU_DEP_2) | instskip(NEXT) | instid1(VALU_DEP_4)
	v_add_co_ci_u32_e32 v22, vcc_lo, v13, v9, vcc_lo
	v_add_co_ci_u32_e32 v21, vcc_lo, 0, v21, vcc_lo
	s_delay_alu instid0(VALU_DEP_1) | instskip(NEXT) | instid1(VALU_DEP_1)
	v_add_nc_u64_e32 v[8:9], v[22:23], v[20:21]
	v_mul_u64_e32 v[12:13], s[2:3], v[8:9]
	s_delay_alu instid0(VALU_DEP_1) | instskip(NEXT) | instid1(VALU_DEP_2)
	v_sub_nc_u32_e32 v3, v18, v13
	v_sub_co_u32 v0, vcc_lo, v0, v12
	s_delay_alu instid0(VALU_DEP_1) | instskip(NEXT) | instid1(VALU_DEP_3)
	v_sub_co_ci_u32_e64 v7, null, v18, v13, vcc_lo
	v_subrev_co_ci_u32_e64 v3, null, s3, v3, vcc_lo
	s_delay_alu instid0(VALU_DEP_3) | instskip(SKIP_1) | instid1(VALU_DEP_3)
	v_sub_co_u32 v5, s1, v0, s2
	v_add_nc_u64_e32 v[12:13], 2, v[8:9]
	v_subrev_co_ci_u32_e64 v3, null, 0, v3, s1
	s_delay_alu instid0(VALU_DEP_3) | instskip(SKIP_2) | instid1(VALU_DEP_4)
	v_cmp_le_u32_e32 vcc_lo, s2, v5
	v_add_nc_u64_e32 v[18:19], 1, v[8:9]
	v_cndmask_b32_e64 v5, 0, -1, vcc_lo
	v_cmp_le_u32_e32 vcc_lo, s3, v3
	v_cndmask_b32_e64 v11, 0, -1, vcc_lo
	v_cmp_le_u32_e32 vcc_lo, s2, v0
	;; [unrolled: 2-line block ×3, first 2 shown]
	v_cndmask_b32_e64 v17, 0, -1, vcc_lo
	v_cmp_eq_u32_e32 vcc_lo, s3, v3
	v_cndmask_b32_e32 v3, v11, v5, vcc_lo
	v_cmp_eq_u32_e32 vcc_lo, s3, v7
	s_delay_alu instid0(VALU_DEP_4) | instskip(NEXT) | instid1(VALU_DEP_3)
	v_cndmask_b32_e32 v0, v17, v0, vcc_lo
	v_cmp_ne_u32_e32 vcc_lo, 0, v3
	v_cndmask_b32_e32 v3, v19, v13, vcc_lo
	s_delay_alu instid0(VALU_DEP_3) | instskip(NEXT) | instid1(VALU_DEP_1)
	v_cmp_ne_u32_e64 s1, 0, v0
	v_dual_cndmask_b32 v0, v18, v12, vcc_lo :: v_dual_cndmask_b32 v3, v9, v3, s1
	s_delay_alu instid0(VALU_DEP_1) | instskip(NEXT) | instid1(VALU_DEP_2)
	v_dual_cndmask_b32 v0, v8, v0, s1 :: v_dual_mov_b32 v11, v10
	v_xor_b32_e32 v9, v3, v10
	s_delay_alu instid0(VALU_DEP_2) | instskip(NEXT) | instid1(VALU_DEP_1)
	v_xor_b32_e32 v8, v0, v10
	v_sub_nc_u64_e32 v[10:11], v[8:9], v[10:11]
                                        ; implicit-def: $vgpr8_vgpr9
	s_and_not1_saveexec_b32 s1, s5
	s_cbranch_execz .LBB3_25
.LBB3_27:                               ;   in Loop: Header=BB3_15 Depth=1
	v_mul_hi_u32 v0, v8, v16
	s_delay_alu instid0(VALU_DEP_1) | instskip(NEXT) | instid1(VALU_DEP_1)
	v_mul_lo_u32 v3, v0, s22
	v_dual_add_nc_u32 v5, 1, v0 :: v_dual_sub_nc_u32 v3, v8, v3
	s_delay_alu instid0(VALU_DEP_1) | instskip(SKIP_1) | instid1(VALU_DEP_2)
	v_subrev_nc_u32_e32 v7, s22, v3
	v_cmp_le_u32_e32 vcc_lo, s22, v3
	v_dual_cndmask_b32 v3, v3, v7 :: v_dual_cndmask_b32 v0, v0, v5
	s_delay_alu instid0(VALU_DEP_1) | instskip(NEXT) | instid1(VALU_DEP_2)
	v_cmp_le_u32_e32 vcc_lo, s22, v3
	v_add_nc_u32_e32 v5, 1, v0
	s_delay_alu instid0(VALU_DEP_1)
	v_cndmask_b32_e32 v10, v0, v5, vcc_lo
	s_or_b32 exec_lo, exec_lo, s1
	s_and_saveexec_b32 s3, s0
	s_cbranch_execz .LBB3_14
.LBB3_28:                               ;   in Loop: Header=BB3_15 Depth=1
	v_mad_u32 v3, v4, s26, v6
	v_mul_lo_u32 v4, v2, s21
	s_mov_b32 s29, 0
	s_delay_alu instid0(VALU_DEP_1) | instskip(NEXT) | instid1(VALU_DEP_1)
	v_dual_sub_nc_u32 v0, v10, v3 :: v_dual_ashrrev_i32 v5, 31, v4
	v_dual_mov_b32 v0, v14 :: v_dual_add_nc_u32 v17, 1, v0
	s_delay_alu instid0(VALU_DEP_2) | instskip(NEXT) | instid1(VALU_DEP_2)
	v_lshl_add_u64 v[4:5], v[4:5], 1, s[6:7]
	v_mul_lo_u32 v18, v17, s36
	v_cmp_lt_i32_e64 s1, 0, v17
	s_branch .LBB3_31
.LBB3_29:                               ;   in Loop: Header=BB3_31 Depth=2
	v_mov_b32_e32 v8, 0
.LBB3_30:                               ;   in Loop: Header=BB3_31 Depth=2
	s_delay_alu instid0(VALU_DEP_2) | instskip(NEXT) | instid1(VALU_DEP_1)
	v_mul_lo_u32 v6, v18, v9
	v_cvt_f32_i32_e32 v6, v6
	s_delay_alu instid0(VALU_DEP_1) | instskip(NEXT) | instid1(VALU_DEP_1)
	v_div_scale_f32 v7, null, v6, v6, v8
	v_rcp_f32_e32 v9, v7
	v_nop
	s_delay_alu instid0(TRANS32_DEP_1) | instskip(NEXT) | instid1(VALU_DEP_1)
	v_fma_f32 v10, -v7, v9, 1.0
	v_fmac_f32_e32 v9, v10, v9
	v_div_scale_f32 v10, vcc_lo, v8, v6, v8
	s_delay_alu instid0(VALU_DEP_1) | instskip(NEXT) | instid1(VALU_DEP_1)
	v_mul_f32_e32 v11, v10, v9
	v_fma_f32 v12, -v7, v11, v10
	s_delay_alu instid0(VALU_DEP_1) | instskip(NEXT) | instid1(VALU_DEP_1)
	v_fmac_f32_e32 v11, v12, v9
	v_fma_f32 v7, -v7, v11, v10
	s_delay_alu instid0(VALU_DEP_1) | instskip(NEXT) | instid1(VALU_DEP_1)
	v_div_fmas_f32 v7, v7, v9, v11
	v_div_fixup_f32 v8, v7, v6, v8
	s_delay_alu instid0(VALU_DEP_1) | instskip(SKIP_1) | instid1(VALU_DEP_2)
	v_bfe_u32 v6, v8, 16, 1
	v_cmp_o_f32_e64 s2, v8, v8
	v_add3_u32 v9, v8, v6, 0x7fff
	v_lshl_add_u64 v[6:7], v[0:1], 1, v[4:5]
	s_delay_alu instid0(VALU_DEP_2) | instskip(NEXT) | instid1(VALU_DEP_1)
	v_dual_add_nc_u32 v0, s37, v0 :: v_dual_lshrrev_b32 v9, 16, v9
	v_cmp_le_i32_e32 vcc_lo, s21, v0
	s_delay_alu instid0(VALU_DEP_2)
	v_cndmask_b32_e64 v8, 0x7fc0, v9, s2
	s_or_b32 s29, vcc_lo, s29
	global_store_b16 v[6:7], v8, off
	s_wait_xcnt 0x0
	s_and_not1_b32 exec_lo, exec_lo, s29
	s_cbranch_execz .LBB3_14
.LBB3_31:                               ;   Parent Loop BB3_15 Depth=1
                                        ; =>  This Loop Header: Depth=2
                                        ;       Child Loop BB3_47 Depth 3
                                        ;         Child Loop BB3_50 Depth 4
                                        ;           Child Loop BB3_52 Depth 5
	s_mov_b32 s5, s25
                                        ; implicit-def: $vgpr6_vgpr7
	s_delay_alu instid0(SALU_CYCLE_1) | instskip(SKIP_1) | instid1(SALU_CYCLE_1)
	s_cmp_lg_u64 s[4:5], 0
	s_cselect_b32 s2, -1, 0
	s_and_saveexec_b32 s5, s2
	s_delay_alu instid0(SALU_CYCLE_1)
	s_xor_b32 s5, exec_lo, s5
	s_cbranch_execz .LBB3_33
; %bb.32:                               ;   in Loop: Header=BB3_31 Depth=2
	s_ashr_i32 s30, s25, 31
	s_mov_b32 s49, s4
	s_mov_b32 s31, s30
	;; [unrolled: 1-line block ×3, first 2 shown]
	s_add_nc_u64 s[34:35], s[24:25], s[30:31]
	v_add_nc_u64_e32 v[6:7], 0, v[0:1]
	s_xor_b64 s[34:35], s[34:35], s[30:31]
	v_mov_b32_e32 v9, v1
	s_cvt_f32_u32 s2, s34
	s_cvt_f32_u32 s31, s35
	s_sub_nc_u64 s[46:47], 0, s[34:35]
	s_delay_alu instid0(VALU_DEP_2) | instskip(NEXT) | instid1(SALU_CYCLE_1)
	v_dual_mov_b32 v11, v1 :: v_dual_mov_b32 v10, v7
	s_fmamk_f32 s2, s31, 0x4f800000, s2
	v_dual_mov_b32 v8, v6 :: v_dual_mov_b32 v21, v1
	s_delay_alu instid0(SALU_CYCLE_2) | instskip(NEXT) | instid1(TRANS32_DEP_1)
	v_s_rcp_f32 s2, s2
	s_mul_f32 s2, s2, 0x5f7ffffc
	s_delay_alu instid0(SALU_CYCLE_3) | instskip(NEXT) | instid1(SALU_CYCLE_3)
	s_mul_f32 s31, s2, 0x2f800000
	s_trunc_f32 s31, s31
	s_delay_alu instid0(SALU_CYCLE_3) | instskip(SKIP_1) | instid1(SALU_CYCLE_2)
	s_fmamk_f32 s2, s31, 0xcf800000, s2
	s_cvt_u32_f32 s45, s31
	s_cvt_u32_f32 s44, s2
	s_delay_alu instid0(SALU_CYCLE_3) | instskip(NEXT) | instid1(SALU_CYCLE_1)
	s_mul_u64 s[50:51], s[46:47], s[44:45]
	s_mul_hi_u32 s55, s44, s51
	s_mul_i32 s54, s44, s51
	s_mul_hi_u32 s48, s44, s50
	s_mul_i32 s31, s45, s50
	s_add_nc_u64 s[48:49], s[48:49], s[54:55]
	s_mul_hi_u32 s2, s45, s50
	s_mul_hi_u32 s43, s45, s51
	s_add_co_u32 s31, s48, s31
	s_add_co_ci_u32 s52, s49, s2
	s_mul_i32 s50, s45, s51
	s_add_co_ci_u32 s51, s43, 0
	s_delay_alu instid0(SALU_CYCLE_1) | instskip(SKIP_3) | instid1(SALU_CYCLE_1)
	s_add_nc_u64 s[48:49], s[52:53], s[50:51]
	s_mov_b32 s51, s4
	s_add_co_u32 s44, s44, s48
	s_cselect_b32 s2, -1, 0
	s_cmp_lg_u32 s2, 0
	s_add_co_ci_u32 s45, s45, s49
	s_mov_b32 s49, s4
	s_mul_u64 s[46:47], s[46:47], s[44:45]
	s_delay_alu instid0(SALU_CYCLE_1)
	s_mul_hi_u32 s53, s44, s47
	s_mul_i32 s52, s44, s47
	s_mul_hi_u32 s50, s44, s46
	s_mul_i32 s31, s45, s46
	s_add_nc_u64 s[50:51], s[50:51], s[52:53]
	s_mul_hi_u32 s2, s45, s46
	s_mul_hi_u32 s43, s45, s47
	s_add_co_u32 s31, s50, s31
	s_add_co_ci_u32 s48, s51, s2
	s_mul_i32 s46, s45, s47
	s_add_co_ci_u32 s47, s43, 0
	s_delay_alu instid0(SALU_CYCLE_1) | instskip(NEXT) | instid1(SALU_CYCLE_1)
	s_add_nc_u64 s[46:47], s[48:49], s[46:47]
	s_add_co_u32 s2, s44, s46
	s_cselect_b32 s31, -1, 0
	v_nop
	v_mul_hi_u32 v20, v6, s2
	s_cmp_lg_u32 s31, 0
	s_add_co_ci_u32 s48, s45, s47
	s_and_b64 s[44:45], s[2:3], s[12:13]
	v_mul_u64_e32 v[8:9], s[48:49], v[8:9]
	v_mul_u64_e32 v[12:13], s[44:45], v[10:11]
	;; [unrolled: 1-line block ×3, first 2 shown]
	s_delay_alu instid0(VALU_DEP_3) | instskip(NEXT) | instid1(VALU_DEP_1)
	v_add_nc_u64_e32 v[8:9], v[20:21], v[8:9]
	v_add_co_u32 v8, vcc_lo, v8, v12
	s_delay_alu instid0(VALU_DEP_2) | instskip(NEXT) | instid1(VALU_DEP_4)
	v_add_co_ci_u32_e32 v20, vcc_lo, v9, v13, vcc_lo
	v_add_co_ci_u32_e32 v11, vcc_lo, 0, v11, vcc_lo
	s_delay_alu instid0(VALU_DEP_1) | instskip(NEXT) | instid1(VALU_DEP_1)
	v_add_nc_u64_e32 v[8:9], v[20:21], v[10:11]
	v_mul_u64_e32 v[10:11], s[34:35], v[8:9]
	s_delay_alu instid0(VALU_DEP_1) | instskip(NEXT) | instid1(VALU_DEP_2)
	v_sub_nc_u32_e32 v12, v7, v11
	v_sub_co_u32 v6, vcc_lo, v6, v10
	s_delay_alu instid0(VALU_DEP_1) | instskip(NEXT) | instid1(VALU_DEP_3)
	v_sub_co_ci_u32_e64 v11, null, v7, v11, vcc_lo
	v_subrev_co_ci_u32_e64 v10, null, s35, v12, vcc_lo
	s_delay_alu instid0(VALU_DEP_3) | instskip(SKIP_1) | instid1(VALU_DEP_3)
	v_sub_co_u32 v19, s2, v6, s34
	v_cmp_le_u32_e32 vcc_lo, s34, v6
	v_subrev_co_ci_u32_e64 v10, null, 0, v10, s2
	s_delay_alu instid0(VALU_DEP_3) | instskip(SKIP_2) | instid1(VALU_DEP_4)
	v_cmp_le_u32_e64 s2, s34, v19
	v_add_nc_u64_e32 v[12:13], 2, v[8:9]
	v_cndmask_b32_e64 v21, 0, -1, vcc_lo
	v_cmp_eq_u32_e32 vcc_lo, s35, v10
	v_add_nc_u64_e32 v[6:7], 1, v[8:9]
	v_cndmask_b32_e64 v19, 0, -1, s2
	v_cmp_le_u32_e64 s2, s35, v10
	s_delay_alu instid0(VALU_DEP_1) | instskip(SKIP_1) | instid1(VALU_DEP_2)
	v_cndmask_b32_e64 v20, 0, -1, s2
	v_cmp_eq_u32_e64 s2, s35, v11
	v_cndmask_b32_e32 v10, v20, v19, vcc_lo
	v_cmp_le_u32_e32 vcc_lo, s35, v11
	v_cndmask_b32_e64 v19, 0, -1, vcc_lo
	s_delay_alu instid0(VALU_DEP_3) | instskip(NEXT) | instid1(VALU_DEP_2)
	v_cmp_ne_u32_e32 vcc_lo, 0, v10
	v_dual_cndmask_b32 v10, v19, v21, s2 :: v_dual_cndmask_b32 v6, v6, v12, vcc_lo
	v_cndmask_b32_e32 v7, v7, v13, vcc_lo
	s_delay_alu instid0(VALU_DEP_2) | instskip(NEXT) | instid1(VALU_DEP_2)
	v_cmp_ne_u32_e32 vcc_lo, 0, v10
	v_dual_cndmask_b32 v9, v9, v7 :: v_dual_cndmask_b32 v8, v8, v6
	v_dual_mov_b32 v7, s30 :: v_dual_mov_b32 v6, s30
	s_delay_alu instid0(VALU_DEP_2) | instskip(NEXT) | instid1(VALU_DEP_3)
	v_xor_b32_e32 v9, s30, v9
	v_xor_b32_e32 v8, s30, v8
	s_delay_alu instid0(VALU_DEP_1)
	v_sub_nc_u64_e32 v[6:7], v[8:9], v[6:7]
.LBB3_33:                               ;   in Loop: Header=BB3_31 Depth=2
	s_and_not1_saveexec_b32 s2, s5
	s_cbranch_execz .LBB3_35
; %bb.34:                               ;   in Loop: Header=BB3_31 Depth=2
	v_cvt_f32_u32_e32 v6, s24
	s_sub_co_i32 s5, 0, s24
	s_delay_alu instid0(VALU_DEP_1) | instskip(SKIP_1) | instid1(TRANS32_DEP_1)
	v_rcp_iflag_f32_e32 v6, v6
	v_nop
	v_mul_f32_e32 v6, 0x4f7ffffe, v6
	s_delay_alu instid0(VALU_DEP_1) | instskip(NEXT) | instid1(VALU_DEP_1)
	v_cvt_u32_f32_e32 v6, v6
	v_mul_lo_u32 v7, s5, v6
	s_delay_alu instid0(VALU_DEP_1) | instskip(NEXT) | instid1(VALU_DEP_1)
	v_mul_hi_u32 v7, v6, v7
	v_add_nc_u32_e32 v6, v6, v7
	s_delay_alu instid0(VALU_DEP_1) | instskip(NEXT) | instid1(VALU_DEP_1)
	v_mul_hi_u32 v6, v0, v6
	v_mul_lo_u32 v7, v6, s24
	s_delay_alu instid0(VALU_DEP_1) | instskip(NEXT) | instid1(VALU_DEP_1)
	v_dual_add_nc_u32 v8, 1, v6 :: v_dual_sub_nc_u32 v7, v0, v7
	v_subrev_nc_u32_e32 v9, s24, v7
	v_cmp_le_u32_e32 vcc_lo, s24, v7
	s_delay_alu instid0(VALU_DEP_2) | instskip(NEXT) | instid1(VALU_DEP_1)
	v_dual_cndmask_b32 v7, v7, v9 :: v_dual_cndmask_b32 v6, v6, v8
	v_cmp_le_u32_e32 vcc_lo, s24, v7
	s_delay_alu instid0(VALU_DEP_2) | instskip(NEXT) | instid1(VALU_DEP_1)
	v_dual_mov_b32 v7, v1 :: v_dual_add_nc_u32 v8, 1, v6
	v_cndmask_b32_e32 v6, v6, v8, vcc_lo
.LBB3_35:                               ;   in Loop: Header=BB3_31 Depth=2
	s_or_b32 exec_lo, exec_lo, s2
	s_delay_alu instid0(VALU_DEP_1) | instskip(NEXT) | instid1(VALU_DEP_1)
	v_mul_u64_e32 v[8:9], s[24:25], v[6:7]
	v_sub_nc_u64_e32 v[8:9], v[0:1], v[8:9]
	s_delay_alu instid0(VALU_DEP_1) | instskip(NEXT) | instid1(VALU_DEP_1)
	v_mul_u64_e32 v[10:11], s[14:15], v[8:9]
	v_dual_mov_b32 v8, v1 :: v_dual_bitop2_b32 v9, s25, v11 bitop3:0x54
	s_delay_alu instid0(VALU_DEP_1) | instskip(SKIP_1) | instid1(SALU_CYCLE_1)
	v_cmp_ne_u64_e32 vcc_lo, 0, v[8:9]
                                        ; implicit-def: $vgpr8_vgpr9
	s_and_saveexec_b32 s2, vcc_lo
	s_xor_b32 s5, exec_lo, s2
	s_cbranch_execz .LBB3_37
; %bb.36:                               ;   in Loop: Header=BB3_31 Depth=2
	s_ashr_i32 s30, s25, 31
	s_mov_b32 s49, s4
	s_mov_b32 s31, s30
	;; [unrolled: 1-line block ×3, first 2 shown]
	s_add_nc_u64 s[34:35], s[24:25], s[30:31]
	v_dual_mov_b32 v13, v1 :: v_dual_ashrrev_i32 v8, 31, v11
	s_xor_b64 s[34:35], s[34:35], s[30:31]
	s_delay_alu instid0(SALU_CYCLE_1) | instskip(SKIP_3) | instid1(SALU_CYCLE_1)
	s_cvt_f32_u32 s2, s34
	s_cvt_f32_u32 s31, s35
	s_sub_nc_u64 s[46:47], 0, s[34:35]
	v_mov_b32_e32 v9, v8
	s_fmamk_f32 s2, s31, 0x4f800000, s2
	s_delay_alu instid0(VALU_DEP_1) | instskip(NEXT) | instid1(SALU_CYCLE_2)
	v_add_nc_u64_e32 v[10:11], v[10:11], v[8:9]
	v_s_rcp_f32 s2, s2
	s_delay_alu instid0(VALU_DEP_1) | instskip(NEXT) | instid1(VALU_DEP_2)
	v_dual_mov_b32 v23, v1 :: v_dual_bitop2_b32 v22, v11, v8 bitop3:0x14
	v_xor_b32_e32 v12, v10, v8
	s_delay_alu instid0(TRANS32_DEP_1) | instskip(SKIP_1) | instid1(SALU_CYCLE_2)
	s_mul_f32 s2, s2, 0x5f7ffffc
	v_mov_b32_e32 v27, v1
	s_mul_f32 s31, s2, 0x2f800000
	s_delay_alu instid0(SALU_CYCLE_3) | instskip(NEXT) | instid1(SALU_CYCLE_3)
	s_trunc_f32 s31, s31
	s_fmamk_f32 s2, s31, 0xcf800000, s2
	s_cvt_u32_f32 s45, s31
	s_delay_alu instid0(SALU_CYCLE_2) | instskip(NEXT) | instid1(SALU_CYCLE_3)
	s_cvt_u32_f32 s44, s2
	s_mul_u64 s[50:51], s[46:47], s[44:45]
	s_delay_alu instid0(SALU_CYCLE_1)
	s_mul_hi_u32 s55, s44, s51
	s_mul_i32 s54, s44, s51
	s_mul_hi_u32 s48, s44, s50
	s_mul_i32 s31, s45, s50
	s_add_nc_u64 s[48:49], s[48:49], s[54:55]
	s_mul_hi_u32 s2, s45, s50
	s_mul_hi_u32 s43, s45, s51
	s_add_co_u32 s31, s48, s31
	s_add_co_ci_u32 s52, s49, s2
	s_mul_i32 s50, s45, s51
	s_add_co_ci_u32 s51, s43, 0
	s_delay_alu instid0(SALU_CYCLE_1) | instskip(SKIP_3) | instid1(SALU_CYCLE_1)
	s_add_nc_u64 s[48:49], s[52:53], s[50:51]
	s_mov_b32 s51, s4
	s_add_co_u32 s44, s44, s48
	s_cselect_b32 s2, -1, 0
	s_cmp_lg_u32 s2, 0
	s_add_co_ci_u32 s45, s45, s49
	s_mov_b32 s49, s4
	s_mul_u64 s[46:47], s[46:47], s[44:45]
	s_delay_alu instid0(SALU_CYCLE_1)
	s_mul_hi_u32 s53, s44, s47
	s_mul_i32 s52, s44, s47
	s_mul_hi_u32 s50, s44, s46
	s_mul_i32 s31, s45, s46
	s_add_nc_u64 s[50:51], s[50:51], s[52:53]
	s_mul_hi_u32 s2, s45, s46
	s_mul_hi_u32 s43, s45, s47
	s_add_co_u32 s31, s50, s31
	s_add_co_ci_u32 s48, s51, s2
	s_mul_i32 s46, s45, s47
	s_add_co_ci_u32 s47, s43, 0
	s_delay_alu instid0(SALU_CYCLE_1) | instskip(NEXT) | instid1(SALU_CYCLE_1)
	s_add_nc_u64 s[46:47], s[48:49], s[46:47]
	s_add_co_u32 s2, s44, s46
	s_cselect_b32 s31, -1, 0
	v_mul_hi_u32 v26, v12, s2
	s_cmp_lg_u32 s31, 0
	s_add_co_ci_u32 s48, s45, s47
	s_and_b64 s[44:45], s[2:3], s[12:13]
	v_mul_u64_e32 v[20:21], s[48:49], v[12:13]
	v_mul_u64_e32 v[10:11], s[44:45], v[22:23]
	;; [unrolled: 1-line block ×3, first 2 shown]
	s_delay_alu instid0(VALU_DEP_3) | instskip(NEXT) | instid1(VALU_DEP_1)
	v_add_nc_u64_e32 v[20:21], v[26:27], v[20:21]
	v_add_co_u32 v7, vcc_lo, v20, v10
	s_delay_alu instid0(VALU_DEP_2) | instskip(NEXT) | instid1(VALU_DEP_4)
	v_add_co_ci_u32_e32 v26, vcc_lo, v21, v11, vcc_lo
	v_add_co_ci_u32_e32 v25, vcc_lo, 0, v25, vcc_lo
	s_delay_alu instid0(VALU_DEP_1) | instskip(NEXT) | instid1(VALU_DEP_1)
	v_add_nc_u64_e32 v[10:11], v[26:27], v[24:25]
	v_mul_u64_e32 v[20:21], s[34:35], v[10:11]
	s_delay_alu instid0(VALU_DEP_1) | instskip(NEXT) | instid1(VALU_DEP_2)
	v_sub_nc_u32_e32 v7, v22, v21
	v_sub_co_u32 v9, vcc_lo, v12, v20
	s_delay_alu instid0(VALU_DEP_1) | instskip(NEXT) | instid1(VALU_DEP_3)
	v_sub_co_ci_u32_e64 v19, null, v22, v21, vcc_lo
	v_subrev_co_ci_u32_e64 v7, null, s35, v7, vcc_lo
	s_delay_alu instid0(VALU_DEP_3) | instskip(SKIP_1) | instid1(VALU_DEP_3)
	v_sub_co_u32 v12, s2, v9, s34
	v_add_nc_u64_e32 v[20:21], 1, v[10:11]
	v_subrev_co_ci_u32_e64 v7, null, 0, v7, s2
	s_delay_alu instid0(VALU_DEP_3) | instskip(SKIP_1) | instid1(VALU_DEP_3)
	v_cmp_le_u32_e32 vcc_lo, s34, v12
	v_cndmask_b32_e64 v12, 0, -1, vcc_lo
	v_cmp_le_u32_e32 vcc_lo, s35, v7
	v_cndmask_b32_e64 v13, 0, -1, vcc_lo
	v_cmp_le_u32_e32 vcc_lo, s34, v9
	v_cndmask_b32_e64 v9, 0, -1, vcc_lo
	v_cmp_le_u32_e32 vcc_lo, s35, v19
	v_cndmask_b32_e64 v22, 0, -1, vcc_lo
	v_cmp_eq_u32_e32 vcc_lo, s35, v7
	v_cndmask_b32_e32 v7, v13, v12, vcc_lo
	v_cmp_eq_u32_e32 vcc_lo, s35, v19
	v_add_nc_u64_e32 v[12:13], 2, v[10:11]
	v_cndmask_b32_e32 v9, v22, v9, vcc_lo
	s_delay_alu instid0(VALU_DEP_4) | instskip(NEXT) | instid1(VALU_DEP_2)
	v_cmp_ne_u32_e32 vcc_lo, 0, v7
	v_cmp_ne_u32_e64 s2, 0, v9
	s_delay_alu instid0(VALU_DEP_4) | instskip(NEXT) | instid1(VALU_DEP_1)
	v_dual_cndmask_b32 v7, v21, v13, vcc_lo :: v_dual_cndmask_b32 v9, v20, v12, vcc_lo
	v_dual_cndmask_b32 v7, v11, v7, s2 :: v_dual_bitop2_b32 v8, s30, v8 bitop3:0x14
	s_delay_alu instid0(VALU_DEP_1) | instskip(NEXT) | instid1(VALU_DEP_2)
	v_dual_cndmask_b32 v10, v10, v9, s2 :: v_dual_mov_b32 v9, v8
	v_xor_b32_e32 v11, v7, v8
	s_delay_alu instid0(VALU_DEP_2) | instskip(NEXT) | instid1(VALU_DEP_1)
	v_xor_b32_e32 v10, v10, v8
	v_sub_nc_u64_e32 v[8:9], v[10:11], v[8:9]
                                        ; implicit-def: $vgpr10_vgpr11
.LBB3_37:                               ;   in Loop: Header=BB3_31 Depth=2
	s_and_not1_saveexec_b32 s2, s5
	s_cbranch_execz .LBB3_39
; %bb.38:                               ;   in Loop: Header=BB3_31 Depth=2
	v_cvt_f32_u32_e32 v7, s24
	s_sub_co_i32 s5, 0, s24
	s_delay_alu instid0(VALU_DEP_1) | instskip(SKIP_1) | instid1(TRANS32_DEP_1)
	v_rcp_iflag_f32_e32 v7, v7
	v_nop
	v_mul_f32_e32 v7, 0x4f7ffffe, v7
	s_delay_alu instid0(VALU_DEP_1) | instskip(NEXT) | instid1(VALU_DEP_1)
	v_cvt_u32_f32_e32 v7, v7
	v_mul_lo_u32 v8, s5, v7
	s_delay_alu instid0(VALU_DEP_1) | instskip(NEXT) | instid1(VALU_DEP_1)
	v_mul_hi_u32 v8, v7, v8
	v_add_nc_u32_e32 v7, v7, v8
	s_delay_alu instid0(VALU_DEP_1) | instskip(NEXT) | instid1(VALU_DEP_1)
	v_mul_hi_u32 v7, v10, v7
	v_mul_lo_u32 v8, v7, s24
	s_delay_alu instid0(VALU_DEP_1) | instskip(NEXT) | instid1(VALU_DEP_1)
	v_dual_add_nc_u32 v9, 1, v7 :: v_dual_sub_nc_u32 v8, v10, v8
	v_subrev_nc_u32_e32 v10, s24, v8
	v_cmp_le_u32_e32 vcc_lo, s24, v8
	s_delay_alu instid0(VALU_DEP_2) | instskip(NEXT) | instid1(VALU_DEP_1)
	v_dual_cndmask_b32 v8, v8, v10 :: v_dual_cndmask_b32 v7, v7, v9
	v_cmp_le_u32_e32 vcc_lo, s24, v8
	s_delay_alu instid0(VALU_DEP_2) | instskip(NEXT) | instid1(VALU_DEP_1)
	v_add_nc_u32_e32 v9, 1, v7
	v_cndmask_b32_e32 v8, v7, v9, vcc_lo
.LBB3_39:                               ;   in Loop: Header=BB3_31 Depth=2
	s_or_b32 exec_lo, exec_lo, s2
	v_dual_mov_b32 v12, v1 :: v_dual_add_nc_u32 v7, 1, v0
	s_delay_alu instid0(VALU_DEP_1) | instskip(NEXT) | instid1(VALU_DEP_1)
	v_mad_nc_u64_u32 v[10:11], v7, s14, -1
	v_mad_u32 v11, v7, s15, v11
	s_delay_alu instid0(VALU_DEP_1) | instskip(NEXT) | instid1(VALU_DEP_1)
	v_or_b32_e32 v13, s25, v11
	v_cmp_ne_u64_e32 vcc_lo, 0, v[12:13]
                                        ; implicit-def: $vgpr12_vgpr13
	s_and_saveexec_b32 s2, vcc_lo
	s_delay_alu instid0(SALU_CYCLE_1)
	s_xor_b32 s5, exec_lo, s2
	s_cbranch_execz .LBB3_41
; %bb.40:                               ;   in Loop: Header=BB3_31 Depth=2
	s_ashr_i32 s30, s25, 31
	s_mov_b32 s49, s4
	s_mov_b32 s31, s30
	;; [unrolled: 1-line block ×3, first 2 shown]
	s_add_nc_u64 s[34:35], s[24:25], s[30:31]
	v_dual_mov_b32 v21, v1 :: v_dual_ashrrev_i32 v12, 31, v11
	s_xor_b64 s[34:35], s[34:35], s[30:31]
	s_delay_alu instid0(SALU_CYCLE_1) | instskip(SKIP_3) | instid1(SALU_CYCLE_1)
	s_cvt_f32_u32 s2, s34
	s_cvt_f32_u32 s31, s35
	s_sub_nc_u64 s[46:47], 0, s[34:35]
	v_mov_b32_e32 v13, v12
	s_fmamk_f32 s2, s31, 0x4f800000, s2
	s_delay_alu instid0(VALU_DEP_1) | instskip(NEXT) | instid1(SALU_CYCLE_2)
	v_add_nc_u64_e32 v[10:11], v[10:11], v[12:13]
	v_s_rcp_f32 s2, s2
	s_delay_alu instid0(VALU_DEP_1) | instskip(NEXT) | instid1(VALU_DEP_2)
	v_dual_mov_b32 v25, v1 :: v_dual_bitop2_b32 v24, v11, v12 bitop3:0x14
	v_xor_b32_e32 v20, v10, v12
	s_delay_alu instid0(TRANS32_DEP_1) | instskip(SKIP_1) | instid1(SALU_CYCLE_2)
	s_mul_f32 s2, s2, 0x5f7ffffc
	v_dual_mov_b32 v29, v1 :: v_dual_bitop2_b32 v12, s30, v12 bitop3:0x14
	s_mul_f32 s31, s2, 0x2f800000
	s_delay_alu instid0(SALU_CYCLE_3) | instskip(NEXT) | instid1(SALU_CYCLE_3)
	s_trunc_f32 s31, s31
	s_fmamk_f32 s2, s31, 0xcf800000, s2
	s_cvt_u32_f32 s45, s31
	s_delay_alu instid0(SALU_CYCLE_2) | instskip(NEXT) | instid1(SALU_CYCLE_3)
	s_cvt_u32_f32 s44, s2
	s_mul_u64 s[50:51], s[46:47], s[44:45]
	s_delay_alu instid0(SALU_CYCLE_1)
	s_mul_hi_u32 s55, s44, s51
	s_mul_i32 s54, s44, s51
	s_mul_hi_u32 s48, s44, s50
	s_mul_i32 s31, s45, s50
	s_add_nc_u64 s[48:49], s[48:49], s[54:55]
	s_mul_hi_u32 s2, s45, s50
	s_mul_hi_u32 s43, s45, s51
	s_add_co_u32 s31, s48, s31
	s_add_co_ci_u32 s52, s49, s2
	s_mul_i32 s50, s45, s51
	s_add_co_ci_u32 s51, s43, 0
	s_delay_alu instid0(SALU_CYCLE_1) | instskip(SKIP_3) | instid1(SALU_CYCLE_1)
	s_add_nc_u64 s[48:49], s[52:53], s[50:51]
	s_mov_b32 s51, s4
	s_add_co_u32 s44, s44, s48
	s_cselect_b32 s2, -1, 0
	s_cmp_lg_u32 s2, 0
	s_add_co_ci_u32 s45, s45, s49
	s_mov_b32 s49, s4
	s_mul_u64 s[46:47], s[46:47], s[44:45]
	s_delay_alu instid0(SALU_CYCLE_1)
	s_mul_hi_u32 s53, s44, s47
	s_mul_i32 s52, s44, s47
	s_mul_hi_u32 s50, s44, s46
	s_mul_i32 s31, s45, s46
	s_add_nc_u64 s[50:51], s[50:51], s[52:53]
	s_mul_hi_u32 s2, s45, s46
	s_mul_hi_u32 s43, s45, s47
	s_add_co_u32 s31, s50, s31
	s_add_co_ci_u32 s48, s51, s2
	s_mul_i32 s46, s45, s47
	s_add_co_ci_u32 s47, s43, 0
	s_delay_alu instid0(SALU_CYCLE_1) | instskip(NEXT) | instid1(SALU_CYCLE_1)
	s_add_nc_u64 s[46:47], s[48:49], s[46:47]
	s_add_co_u32 s2, s44, s46
	s_cselect_b32 s31, -1, 0
	v_mul_hi_u32 v28, v20, s2
	s_cmp_lg_u32 s31, 0
	s_add_co_ci_u32 s48, s45, s47
	s_and_b64 s[44:45], s[2:3], s[12:13]
	v_mul_u64_e32 v[22:23], s[48:49], v[20:21]
	v_mul_u64_e32 v[10:11], s[44:45], v[24:25]
	;; [unrolled: 1-line block ×3, first 2 shown]
	s_delay_alu instid0(VALU_DEP_3) | instskip(NEXT) | instid1(VALU_DEP_1)
	v_add_nc_u64_e32 v[22:23], v[28:29], v[22:23]
	v_add_co_u32 v7, vcc_lo, v22, v10
	s_delay_alu instid0(VALU_DEP_2) | instskip(NEXT) | instid1(VALU_DEP_4)
	v_add_co_ci_u32_e32 v28, vcc_lo, v23, v11, vcc_lo
	v_add_co_ci_u32_e32 v27, vcc_lo, 0, v27, vcc_lo
	s_delay_alu instid0(VALU_DEP_1) | instskip(NEXT) | instid1(VALU_DEP_1)
	v_add_nc_u64_e32 v[10:11], v[28:29], v[26:27]
	v_mul_u64_e32 v[22:23], s[34:35], v[10:11]
	s_delay_alu instid0(VALU_DEP_1) | instskip(NEXT) | instid1(VALU_DEP_2)
	v_sub_nc_u32_e32 v7, v24, v23
	v_sub_co_u32 v9, vcc_lo, v20, v22
	s_delay_alu instid0(VALU_DEP_1) | instskip(NEXT) | instid1(VALU_DEP_3)
	v_sub_co_ci_u32_e64 v19, null, v24, v23, vcc_lo
	v_subrev_co_ci_u32_e64 v7, null, s35, v7, vcc_lo
	s_delay_alu instid0(VALU_DEP_3) | instskip(SKIP_1) | instid1(VALU_DEP_3)
	v_sub_co_u32 v13, s2, v9, s34
	v_add_nc_u64_e32 v[22:23], 1, v[10:11]
	v_subrev_co_ci_u32_e64 v7, null, 0, v7, s2
	s_delay_alu instid0(VALU_DEP_3) | instskip(SKIP_1) | instid1(VALU_DEP_3)
	v_cmp_le_u32_e32 vcc_lo, s34, v13
	v_cndmask_b32_e64 v13, 0, -1, vcc_lo
	v_cmp_le_u32_e32 vcc_lo, s35, v7
	v_cndmask_b32_e64 v20, 0, -1, vcc_lo
	;; [unrolled: 2-line block ×4, first 2 shown]
	v_cmp_eq_u32_e32 vcc_lo, s35, v7
	v_cndmask_b32_e32 v7, v20, v13, vcc_lo
	v_cmp_eq_u32_e32 vcc_lo, s35, v19
	v_add_nc_u64_e32 v[20:21], 2, v[10:11]
	v_mov_b32_e32 v13, v12
	v_cndmask_b32_e32 v9, v24, v9, vcc_lo
	v_cmp_ne_u32_e32 vcc_lo, 0, v7
	s_delay_alu instid0(VALU_DEP_2) | instskip(SKIP_1) | instid1(VALU_DEP_1)
	v_cmp_ne_u32_e64 s2, 0, v9
	v_dual_cndmask_b32 v7, v23, v21, vcc_lo :: v_dual_cndmask_b32 v9, v22, v20, vcc_lo
	v_dual_cndmask_b32 v7, v11, v7, s2 :: v_dual_cndmask_b32 v9, v10, v9, s2
	s_delay_alu instid0(VALU_DEP_1) | instskip(NEXT) | instid1(VALU_DEP_2)
	v_xor_b32_e32 v11, v7, v12
	v_xor_b32_e32 v10, v9, v12
	s_delay_alu instid0(VALU_DEP_1)
	v_sub_nc_u64_e32 v[12:13], v[10:11], v[12:13]
                                        ; implicit-def: $vgpr10_vgpr11
.LBB3_41:                               ;   in Loop: Header=BB3_31 Depth=2
	s_and_not1_saveexec_b32 s2, s5
	s_cbranch_execz .LBB3_43
; %bb.42:                               ;   in Loop: Header=BB3_31 Depth=2
	v_cvt_f32_u32_e32 v7, s24
	s_sub_co_i32 s5, 0, s24
	s_delay_alu instid0(VALU_DEP_1) | instskip(SKIP_1) | instid1(TRANS32_DEP_1)
	v_rcp_iflag_f32_e32 v7, v7
	v_nop
	v_mul_f32_e32 v7, 0x4f7ffffe, v7
	s_delay_alu instid0(VALU_DEP_1) | instskip(NEXT) | instid1(VALU_DEP_1)
	v_cvt_u32_f32_e32 v7, v7
	v_mul_lo_u32 v9, s5, v7
	s_delay_alu instid0(VALU_DEP_1) | instskip(NEXT) | instid1(VALU_DEP_1)
	v_mul_hi_u32 v9, v7, v9
	v_add_nc_u32_e32 v7, v7, v9
	s_delay_alu instid0(VALU_DEP_1) | instskip(NEXT) | instid1(VALU_DEP_1)
	v_mul_hi_u32 v7, v10, v7
	v_mul_lo_u32 v9, v7, s24
	s_delay_alu instid0(VALU_DEP_1) | instskip(NEXT) | instid1(VALU_DEP_1)
	v_dual_sub_nc_u32 v9, v10, v9 :: v_dual_add_nc_u32 v10, 1, v7
	v_subrev_nc_u32_e32 v11, s24, v9
	v_cmp_le_u32_e32 vcc_lo, s24, v9
	s_delay_alu instid0(VALU_DEP_2) | instskip(NEXT) | instid1(VALU_DEP_1)
	v_dual_cndmask_b32 v9, v9, v11, vcc_lo :: v_dual_cndmask_b32 v7, v7, v10, vcc_lo
	v_cmp_le_u32_e32 vcc_lo, s24, v9
	s_delay_alu instid0(VALU_DEP_2) | instskip(NEXT) | instid1(VALU_DEP_1)
	v_add_nc_u32_e32 v10, 1, v7
	v_cndmask_b32_e32 v12, v7, v10, vcc_lo
.LBB3_43:                               ;   in Loop: Header=BB3_31 Depth=2
	s_or_b32 exec_lo, exec_lo, s2
	v_mad_u32 v10, v6, s14, v8
	s_and_not1_b32 vcc_lo, exec_lo, s38
	s_delay_alu instid0(VALU_DEP_1) | instskip(NEXT) | instid1(VALU_DEP_1)
	v_sub_nc_u32_e32 v6, v12, v10
	v_add_nc_u32_e32 v9, 1, v6
	s_cbranch_vccnz .LBB3_29
; %bb.44:                               ;   in Loop: Header=BB3_31 Depth=2
	v_mov_b32_e32 v8, 0
	s_mov_b32 s5, 0
	s_delay_alu instid0(VALU_DEP_2)
	v_cmp_lt_i32_e32 vcc_lo, 0, v9
	s_branch .LBB3_47
.LBB3_45:                               ;   in Loop: Header=BB3_47 Depth=3
	s_or_b32 exec_lo, exec_lo, s35
.LBB3_46:                               ;   in Loop: Header=BB3_47 Depth=3
	s_delay_alu instid0(SALU_CYCLE_1) | instskip(SKIP_1) | instid1(SALU_CYCLE_1)
	s_or_b32 exec_lo, exec_lo, s34
	s_add_co_i32 s5, s5, 1
	s_cmp_lt_i32 s5, s36
	s_cbranch_scc0 .LBB3_30
.LBB3_47:                               ;   Parent Loop BB3_15 Depth=1
                                        ;     Parent Loop BB3_31 Depth=2
                                        ; =>    This Loop Header: Depth=3
                                        ;         Child Loop BB3_50 Depth 4
                                        ;           Child Loop BB3_52 Depth 5
	s_and_saveexec_b32 s34, s1
	s_cbranch_execz .LBB3_46
; %bb.48:                               ;   in Loop: Header=BB3_47 Depth=3
	s_add_co_i32 s30, s5, s33
	s_mov_b32 s35, 0
	s_ashr_i32 s31, s30, 31
	s_mov_b32 s43, 0
	s_mul_u64 s[30:31], s[10:11], s[30:31]
	s_delay_alu instid0(SALU_CYCLE_1) | instskip(NEXT) | instid1(SALU_CYCLE_1)
	s_lshl_b64 s[30:31], s[30:31], 1
	s_add_nc_u64 s[30:31], s[8:9], s[30:31]
	s_branch .LBB3_50
.LBB3_49:                               ;   in Loop: Header=BB3_50 Depth=4
	s_or_b32 exec_lo, exec_lo, s44
	s_add_co_i32 s43, s43, 1
	s_delay_alu instid0(SALU_CYCLE_1) | instskip(SKIP_1) | instid1(SALU_CYCLE_1)
	v_cmp_ge_i32_e64 s2, s43, v17
	s_or_b32 s35, s2, s35
	s_and_not1_b32 exec_lo, exec_lo, s35
	s_cbranch_execz .LBB3_45
.LBB3_50:                               ;   Parent Loop BB3_15 Depth=1
                                        ;     Parent Loop BB3_31 Depth=2
                                        ;       Parent Loop BB3_47 Depth=3
                                        ; =>      This Loop Header: Depth=4
                                        ;           Child Loop BB3_52 Depth 5
	s_and_saveexec_b32 s44, vcc_lo
	s_cbranch_execz .LBB3_49
; %bb.51:                               ;   in Loop: Header=BB3_50 Depth=4
	v_add_nc_u32_e32 v6, s43, v3
	s_mov_b32 s45, 0
	s_mov_b32 s46, 0
	s_delay_alu instid0(VALU_DEP_1) | instskip(NEXT) | instid1(VALU_DEP_1)
	v_ashrrev_i32_e32 v7, 31, v6
	v_mul_u64_e32 v[6:7], s[16:17], v[6:7]
	s_delay_alu instid0(VALU_DEP_1)
	v_lshl_add_u64 v[6:7], v[6:7], 1, s[30:31]
.LBB3_52:                               ;   Parent Loop BB3_15 Depth=1
                                        ;     Parent Loop BB3_31 Depth=2
                                        ;       Parent Loop BB3_47 Depth=3
                                        ;         Parent Loop BB3_50 Depth=4
                                        ; =>        This Inner Loop Header: Depth=5
	v_add_nc_u32_e32 v12, s46, v10
	s_add_co_i32 s46, s46, 1
	s_delay_alu instid0(SALU_CYCLE_1) | instskip(NEXT) | instid1(VALU_DEP_2)
	v_cmp_ge_i32_e64 s2, s46, v9
	v_ashrrev_i32_e32 v13, 31, v12
	s_or_b32 s45, s2, s45
	s_delay_alu instid0(VALU_DEP_1) | instskip(NEXT) | instid1(VALU_DEP_1)
	v_mul_u64_e32 v[12:13], s[18:19], v[12:13]
	v_lshl_add_u64 v[12:13], v[12:13], 1, v[6:7]
	global_load_u16 v11, v[12:13], off
	s_wait_loadcnt 0x0
	v_lshlrev_b32_e32 v11, 16, v11
	s_delay_alu instid0(VALU_DEP_1)
	v_add_f32_e32 v8, v8, v11
	s_wait_xcnt 0x0
	s_and_not1_b32 exec_lo, exec_lo, s45
	s_cbranch_execnz .LBB3_52
; %bb.53:                               ;   in Loop: Header=BB3_50 Depth=4
	s_or_b32 exec_lo, exec_lo, s45
	s_branch .LBB3_49
.LBB3_54:
	s_endpgm
.LBB3_55:
                                        ; implicit-def: $sgpr22_sgpr23
	s_branch .LBB3_2
.LBB3_56:
                                        ; implicit-def: $sgpr26_sgpr27
	s_branch .LBB3_5
.LBB3_57:
                                        ; implicit-def: $sgpr30_sgpr31
	s_load_b32 s27, s[0:1], 0x6c
	s_branch .LBB3_8
.LBB3_58:
                                        ; implicit-def: $sgpr34_sgpr35
	s_load_b32 s41, s[0:1], 0x64
	s_branch .LBB3_12
	.section	.rodata,"a",@progbits
	.p2align	6, 0x0
	.amdhsa_kernel _ZN2at6native12_GLOBAL__N_119adaptiveaveragepoolIN3c108BFloat16EfEEvPKT_PS5_iiiiiilllllll
		.amdhsa_group_segment_fixed_size 0
		.amdhsa_private_segment_fixed_size 0
		.amdhsa_kernarg_size 352
		.amdhsa_user_sgpr_count 2
		.amdhsa_user_sgpr_dispatch_ptr 0
		.amdhsa_user_sgpr_queue_ptr 0
		.amdhsa_user_sgpr_kernarg_segment_ptr 1
		.amdhsa_user_sgpr_dispatch_id 0
		.amdhsa_user_sgpr_kernarg_preload_length 0
		.amdhsa_user_sgpr_kernarg_preload_offset 0
		.amdhsa_user_sgpr_private_segment_size 0
		.amdhsa_wavefront_size32 1
		.amdhsa_uses_dynamic_stack 0
		.amdhsa_enable_private_segment 0
		.amdhsa_system_sgpr_workgroup_id_x 1
		.amdhsa_system_sgpr_workgroup_id_y 1
		.amdhsa_system_sgpr_workgroup_id_z 0
		.amdhsa_system_sgpr_workgroup_info 0
		.amdhsa_system_vgpr_workitem_id 1
		.amdhsa_next_free_vgpr 30
		.amdhsa_next_free_sgpr 56
		.amdhsa_named_barrier_count 0
		.amdhsa_reserve_vcc 1
		.amdhsa_float_round_mode_32 0
		.amdhsa_float_round_mode_16_64 0
		.amdhsa_float_denorm_mode_32 3
		.amdhsa_float_denorm_mode_16_64 3
		.amdhsa_fp16_overflow 0
		.amdhsa_memory_ordered 1
		.amdhsa_forward_progress 1
		.amdhsa_inst_pref_size 63
		.amdhsa_round_robin_scheduling 0
		.amdhsa_exception_fp_ieee_invalid_op 0
		.amdhsa_exception_fp_denorm_src 0
		.amdhsa_exception_fp_ieee_div_zero 0
		.amdhsa_exception_fp_ieee_overflow 0
		.amdhsa_exception_fp_ieee_underflow 0
		.amdhsa_exception_fp_ieee_inexact 0
		.amdhsa_exception_int_div_zero 0
	.end_amdhsa_kernel
	.section	.text._ZN2at6native12_GLOBAL__N_119adaptiveaveragepoolIN3c108BFloat16EfEEvPKT_PS5_iiiiiilllllll,"axG",@progbits,_ZN2at6native12_GLOBAL__N_119adaptiveaveragepoolIN3c108BFloat16EfEEvPKT_PS5_iiiiiilllllll,comdat
.Lfunc_end3:
	.size	_ZN2at6native12_GLOBAL__N_119adaptiveaveragepoolIN3c108BFloat16EfEEvPKT_PS5_iiiiiilllllll, .Lfunc_end3-_ZN2at6native12_GLOBAL__N_119adaptiveaveragepoolIN3c108BFloat16EfEEvPKT_PS5_iiiiiilllllll
                                        ; -- End function
	.set _ZN2at6native12_GLOBAL__N_119adaptiveaveragepoolIN3c108BFloat16EfEEvPKT_PS5_iiiiiilllllll.num_vgpr, 30
	.set _ZN2at6native12_GLOBAL__N_119adaptiveaveragepoolIN3c108BFloat16EfEEvPKT_PS5_iiiiiilllllll.num_agpr, 0
	.set _ZN2at6native12_GLOBAL__N_119adaptiveaveragepoolIN3c108BFloat16EfEEvPKT_PS5_iiiiiilllllll.numbered_sgpr, 56
	.set _ZN2at6native12_GLOBAL__N_119adaptiveaveragepoolIN3c108BFloat16EfEEvPKT_PS5_iiiiiilllllll.num_named_barrier, 0
	.set _ZN2at6native12_GLOBAL__N_119adaptiveaveragepoolIN3c108BFloat16EfEEvPKT_PS5_iiiiiilllllll.private_seg_size, 0
	.set _ZN2at6native12_GLOBAL__N_119adaptiveaveragepoolIN3c108BFloat16EfEEvPKT_PS5_iiiiiilllllll.uses_vcc, 1
	.set _ZN2at6native12_GLOBAL__N_119adaptiveaveragepoolIN3c108BFloat16EfEEvPKT_PS5_iiiiiilllllll.uses_flat_scratch, 0
	.set _ZN2at6native12_GLOBAL__N_119adaptiveaveragepoolIN3c108BFloat16EfEEvPKT_PS5_iiiiiilllllll.has_dyn_sized_stack, 0
	.set _ZN2at6native12_GLOBAL__N_119adaptiveaveragepoolIN3c108BFloat16EfEEvPKT_PS5_iiiiiilllllll.has_recursion, 0
	.set _ZN2at6native12_GLOBAL__N_119adaptiveaveragepoolIN3c108BFloat16EfEEvPKT_PS5_iiiiiilllllll.has_indirect_call, 0
	.section	.AMDGPU.csdata,"",@progbits
; Kernel info:
; codeLenInByte = 7984
; TotalNumSgprs: 58
; NumVgprs: 30
; ScratchSize: 0
; MemoryBound: 0
; FloatMode: 240
; IeeeMode: 1
; LDSByteSize: 0 bytes/workgroup (compile time only)
; SGPRBlocks: 0
; VGPRBlocks: 1
; NumSGPRsForWavesPerEU: 58
; NumVGPRsForWavesPerEU: 30
; NamedBarCnt: 0
; Occupancy: 16
; WaveLimiterHint : 0
; COMPUTE_PGM_RSRC2:SCRATCH_EN: 0
; COMPUTE_PGM_RSRC2:USER_SGPR: 2
; COMPUTE_PGM_RSRC2:TRAP_HANDLER: 0
; COMPUTE_PGM_RSRC2:TGID_X_EN: 1
; COMPUTE_PGM_RSRC2:TGID_Y_EN: 1
; COMPUTE_PGM_RSRC2:TGID_Z_EN: 0
; COMPUTE_PGM_RSRC2:TIDIG_COMP_CNT: 1
	.section	.text._ZN2at6native12_GLOBAL__N_130atomicadaptiveaveragegradinputIdEEvPT_PKS3_iiiiiil,"axG",@progbits,_ZN2at6native12_GLOBAL__N_130atomicadaptiveaveragegradinputIdEEvPT_PKS3_iiiiiil,comdat
	.globl	_ZN2at6native12_GLOBAL__N_130atomicadaptiveaveragegradinputIdEEvPT_PKS3_iiiiiil ; -- Begin function _ZN2at6native12_GLOBAL__N_130atomicadaptiveaveragegradinputIdEEvPT_PKS3_iiiiiil
	.p2align	8
	.type	_ZN2at6native12_GLOBAL__N_130atomicadaptiveaveragegradinputIdEEvPT_PKS3_iiiiiil,@function
_ZN2at6native12_GLOBAL__N_130atomicadaptiveaveragegradinputIdEEvPT_PKS3_iiiiiil: ; @_ZN2at6native12_GLOBAL__N_130atomicadaptiveaveragegradinputIdEEvPT_PKS3_iiiiiil
; %bb.0:
	s_load_b256 s[4:11], s[0:1], 0x10
	s_bfe_u32 s2, ttmp6, 0x4000c
	s_and_b32 s3, ttmp6, 15
	s_add_co_i32 s2, s2, 1
	s_getreg_b32 s26, hwreg(HW_REG_IB_STS2, 6, 4)
	s_mul_i32 s2, ttmp9, s2
	s_mov_b32 s13, 0
	s_add_co_i32 s3, s3, s2
	s_cmp_eq_u32 s26, 0
	s_cselect_b32 s12, ttmp9, s3
	s_wait_kmcnt 0x0
	s_add_nc_u64 s[14:15], s[10:11], s[12:13]
	s_ashr_i32 s3, s7, 31
	s_mov_b32 s2, s7
	s_delay_alu instid0(SALU_CYCLE_1) | instskip(NEXT) | instid1(SALU_CYCLE_1)
	s_or_b64 s[10:11], s[14:15], s[2:3]
	s_and_b64 s[10:11], s[10:11], 0xffffffff00000000
	s_delay_alu instid0(SALU_CYCLE_1)
	s_cmp_lg_u64 s[10:11], 0
	s_cbranch_scc0 .LBB4_45
; %bb.1:
	s_ashr_i32 s10, s3, 31
	s_delay_alu instid0(SALU_CYCLE_1) | instskip(NEXT) | instid1(SALU_CYCLE_1)
	s_mov_b32 s11, s10
	s_add_nc_u64 s[16:17], s[2:3], s[10:11]
	s_delay_alu instid0(SALU_CYCLE_1) | instskip(NEXT) | instid1(SALU_CYCLE_1)
	s_xor_b64 s[16:17], s[16:17], s[10:11]
	s_cvt_f32_u32 s7, s16
	s_cvt_f32_u32 s12, s17
	s_sub_nc_u64 s[20:21], 0, s[16:17]
	s_delay_alu instid0(SALU_CYCLE_2) | instskip(NEXT) | instid1(SALU_CYCLE_3)
	s_fmamk_f32 s7, s12, 0x4f800000, s7
	v_s_rcp_f32 s7, s7
	s_delay_alu instid0(TRANS32_DEP_1) | instskip(NEXT) | instid1(SALU_CYCLE_3)
	s_mul_f32 s7, s7, 0x5f7ffffc
	s_mul_f32 s12, s7, 0x2f800000
	s_delay_alu instid0(SALU_CYCLE_3) | instskip(NEXT) | instid1(SALU_CYCLE_3)
	s_trunc_f32 s12, s12
	s_fmamk_f32 s7, s12, 0xcf800000, s7
	s_cvt_u32_f32 s19, s12
	s_delay_alu instid0(SALU_CYCLE_2) | instskip(NEXT) | instid1(SALU_CYCLE_3)
	s_cvt_u32_f32 s18, s7
	s_mul_u64 s[22:23], s[20:21], s[18:19]
	s_delay_alu instid0(SALU_CYCLE_1)
	s_mul_hi_u32 s25, s18, s23
	s_mul_i32 s24, s18, s23
	s_mul_hi_u32 s12, s18, s22
	s_mul_i32 s27, s19, s22
	s_add_nc_u64 s[24:25], s[12:13], s[24:25]
	s_mul_hi_u32 s7, s19, s22
	s_mul_hi_u32 s28, s19, s23
	s_add_co_u32 s12, s24, s27
	s_add_co_ci_u32 s12, s25, s7
	s_mul_i32 s22, s19, s23
	s_add_co_ci_u32 s23, s28, 0
	s_delay_alu instid0(SALU_CYCLE_1) | instskip(NEXT) | instid1(SALU_CYCLE_1)
	s_add_nc_u64 s[22:23], s[12:13], s[22:23]
	s_add_co_u32 s18, s18, s22
	s_cselect_b32 s7, -1, 0
	s_delay_alu instid0(SALU_CYCLE_1) | instskip(SKIP_1) | instid1(SALU_CYCLE_1)
	s_cmp_lg_u32 s7, 0
	s_add_co_ci_u32 s19, s19, s23
	s_mul_u64 s[20:21], s[20:21], s[18:19]
	s_delay_alu instid0(SALU_CYCLE_1)
	s_mul_hi_u32 s23, s18, s21
	s_mul_i32 s22, s18, s21
	s_mul_hi_u32 s12, s18, s20
	s_mul_i32 s24, s19, s20
	s_add_nc_u64 s[22:23], s[12:13], s[22:23]
	s_mul_hi_u32 s7, s19, s20
	s_mul_hi_u32 s25, s19, s21
	s_add_co_u32 s12, s22, s24
	s_add_co_ci_u32 s12, s23, s7
	s_mul_i32 s20, s19, s21
	s_add_co_ci_u32 s21, s25, 0
	s_delay_alu instid0(SALU_CYCLE_1) | instskip(NEXT) | instid1(SALU_CYCLE_1)
	s_add_nc_u64 s[20:21], s[12:13], s[20:21]
	s_add_co_u32 s7, s18, s20
	s_cselect_b32 s12, -1, 0
	s_delay_alu instid0(SALU_CYCLE_1) | instskip(SKIP_2) | instid1(SALU_CYCLE_1)
	s_cmp_lg_u32 s12, 0
	s_add_co_ci_u32 s24, s19, s21
	s_ashr_i32 s18, s15, 31
	s_mov_b32 s19, s18
	s_delay_alu instid0(SALU_CYCLE_1) | instskip(NEXT) | instid1(SALU_CYCLE_1)
	s_add_nc_u64 s[20:21], s[14:15], s[18:19]
	s_xor_b64 s[20:21], s[20:21], s[18:19]
	s_delay_alu instid0(SALU_CYCLE_1)
	s_mul_hi_u32 s23, s20, s24
	s_mul_i32 s22, s20, s24
	s_mul_hi_u32 s12, s20, s7
	s_mul_hi_u32 s27, s21, s7
	s_mul_i32 s7, s21, s7
	s_add_nc_u64 s[22:23], s[12:13], s[22:23]
	s_mul_hi_u32 s25, s21, s24
	s_add_co_u32 s7, s22, s7
	s_add_co_ci_u32 s12, s23, s27
	s_mul_i32 s24, s21, s24
	s_add_co_ci_u32 s25, s25, 0
	s_delay_alu instid0(SALU_CYCLE_1) | instskip(NEXT) | instid1(SALU_CYCLE_1)
	s_add_nc_u64 s[22:23], s[12:13], s[24:25]
	s_and_b64 s[24:25], s[22:23], 0xffffffff00000000
	s_delay_alu instid0(SALU_CYCLE_1) | instskip(NEXT) | instid1(SALU_CYCLE_1)
	s_or_b32 s24, s24, s22
	s_mul_u64 s[22:23], s[16:17], s[24:25]
	s_add_nc_u64 s[28:29], s[24:25], 1
	s_sub_co_u32 s7, s20, s22
	s_cselect_b32 s12, -1, 0
	s_sub_co_i32 s20, s21, s23
	s_cmp_lg_u32 s12, 0
	s_add_nc_u64 s[30:31], s[24:25], 2
	s_sub_co_ci_u32 s20, s20, s17
	s_sub_co_u32 s22, s7, s16
	s_cselect_b32 s27, -1, 0
	s_delay_alu instid0(SALU_CYCLE_1) | instskip(SKIP_1) | instid1(SALU_CYCLE_1)
	s_cmp_lg_u32 s27, 0
	s_sub_co_ci_u32 s20, s20, 0
	s_cmp_ge_u32 s20, s17
	s_cselect_b32 s27, -1, 0
	s_cmp_ge_u32 s22, s16
	s_cselect_b32 s22, -1, 0
	s_cmp_eq_u32 s20, s17
	s_cselect_b32 s20, s22, s27
	s_delay_alu instid0(SALU_CYCLE_1) | instskip(SKIP_4) | instid1(SALU_CYCLE_1)
	s_cmp_lg_u32 s20, 0
	s_cselect_b32 s20, s30, s28
	s_cselect_b32 s22, s31, s29
	s_cmp_lg_u32 s12, 0
	s_sub_co_ci_u32 s12, s21, s23
	s_cmp_ge_u32 s12, s17
	s_cselect_b32 s21, -1, 0
	s_cmp_ge_u32 s7, s16
	s_cselect_b32 s7, -1, 0
	s_cmp_eq_u32 s12, s17
	s_cselect_b32 s7, s7, s21
	s_delay_alu instid0(SALU_CYCLE_1) | instskip(SKIP_3) | instid1(SALU_CYCLE_1)
	s_cmp_lg_u32 s7, 0
	s_cselect_b32 s17, s22, s25
	s_cselect_b32 s16, s20, s24
	s_xor_b64 s[10:11], s[18:19], s[10:11]
	s_xor_b64 s[16:17], s[16:17], s[10:11]
	s_delay_alu instid0(SALU_CYCLE_1)
	s_sub_nc_u64 s[16:17], s[16:17], s[10:11]
	s_and_not1_b32 vcc_lo, exec_lo, s13
	s_cbranch_vccnz .LBB4_3
.LBB4_2:
	v_cvt_f32_u32_e32 v1, s2
	s_sub_co_i32 s10, 0, s2
	s_mov_b32 s17, 0
	s_delay_alu instid0(VALU_DEP_1) | instskip(SKIP_1) | instid1(TRANS32_DEP_1)
	v_rcp_iflag_f32_e32 v1, v1
	v_nop
	v_mul_f32_e32 v1, 0x4f7ffffe, v1
	s_delay_alu instid0(VALU_DEP_1) | instskip(NEXT) | instid1(VALU_DEP_1)
	v_cvt_u32_f32_e32 v1, v1
	v_readfirstlane_b32 s7, v1
	s_mul_i32 s10, s10, s7
	s_delay_alu instid0(SALU_CYCLE_1) | instskip(NEXT) | instid1(SALU_CYCLE_1)
	s_mul_hi_u32 s10, s7, s10
	s_add_co_i32 s7, s7, s10
	s_delay_alu instid0(SALU_CYCLE_1) | instskip(NEXT) | instid1(SALU_CYCLE_1)
	s_mul_hi_u32 s7, s14, s7
	s_mul_i32 s10, s7, s2
	s_add_co_i32 s11, s7, 1
	s_sub_co_i32 s10, s14, s10
	s_delay_alu instid0(SALU_CYCLE_1)
	s_sub_co_i32 s12, s10, s2
	s_cmp_ge_u32 s10, s2
	s_cselect_b32 s7, s11, s7
	s_cselect_b32 s10, s12, s10
	s_add_co_i32 s11, s7, 1
	s_cmp_ge_u32 s10, s2
	s_cselect_b32 s16, s11, s7
.LBB4_3:
	s_abs_i32 s7, s2
	s_mov_b32 s23, 0
	s_cvt_f32_u32 s10, s7
	s_sub_co_i32 s13, 0, s7
	s_delay_alu instid0(SALU_CYCLE_2) | instskip(SKIP_1) | instid1(TRANS32_DEP_1)
	v_rcp_iflag_f32_e32 v1, s10
	v_nop
	v_readfirstlane_b32 s10, v1
	s_mul_f32 s10, s10, 0x4f7ffffe
	s_delay_alu instid0(SALU_CYCLE_3) | instskip(SKIP_1) | instid1(SALU_CYCLE_1)
	s_cvt_u32_f32 s12, s10
	s_mul_u64 s[10:11], s[16:17], s[2:3]
	s_sub_nc_u64 s[18:19], s[14:15], s[10:11]
	s_delay_alu instid0(SALU_CYCLE_1) | instskip(SKIP_4) | instid1(SALU_CYCLE_1)
	s_mul_i32 s13, s13, s12
	s_ashr_i32 s11, s4, 31
	s_mul_hi_u32 s10, s12, s13
	s_abs_i32 s13, s18
	s_add_co_i32 s12, s12, s10
	s_mul_hi_u32 s10, s13, s12
	s_xor_b32 s12, s18, s2
	s_mul_i32 s17, s10, s7
	s_ashr_i32 s12, s12, 31
	s_sub_co_i32 s13, s13, s17
	s_add_co_i32 s17, s10, 1
	s_sub_co_i32 s20, s13, s7
	s_cmp_ge_u32 s13, s7
	s_cselect_b32 s10, s17, s10
	s_cselect_b32 s13, s20, s13
	s_add_co_i32 s17, s10, 1
	s_cmp_ge_u32 s13, s7
	s_cselect_b32 s7, s17, s10
	s_delay_alu instid0(SALU_CYCLE_1) | instskip(NEXT) | instid1(SALU_CYCLE_1)
	s_xor_b32 s7, s7, s12
	s_sub_co_i32 s7, s7, s12
	s_delay_alu instid0(SALU_CYCLE_1) | instskip(NEXT) | instid1(SALU_CYCLE_1)
	s_mul_i32 s10, s7, s2
	s_sub_co_i32 s12, s18, s10
	s_mov_b32 s10, s4
	s_ashr_i32 s13, s12, 31
	s_delay_alu instid0(SALU_CYCLE_1) | instskip(NEXT) | instid1(SALU_CYCLE_1)
	s_mul_u64 s[20:21], s[12:13], s[10:11]
	s_or_b64 s[12:13], s[20:21], s[2:3]
	s_delay_alu instid0(SALU_CYCLE_1) | instskip(NEXT) | instid1(SALU_CYCLE_1)
	s_and_b64 s[12:13], s[12:13], 0xffffffff00000000
	s_cmp_lg_u64 s[12:13], 0
	s_cbranch_scc0 .LBB4_46
; %bb.4:
	s_ashr_i32 s12, s3, 31
	s_delay_alu instid0(SALU_CYCLE_1) | instskip(NEXT) | instid1(SALU_CYCLE_1)
	s_mov_b32 s13, s12
	s_add_nc_u64 s[24:25], s[2:3], s[12:13]
	s_delay_alu instid0(SALU_CYCLE_1) | instskip(NEXT) | instid1(SALU_CYCLE_1)
	s_xor_b64 s[24:25], s[24:25], s[12:13]
	s_cvt_f32_u32 s17, s24
	s_cvt_f32_u32 s22, s25
	s_sub_nc_u64 s[30:31], 0, s[24:25]
	s_delay_alu instid0(SALU_CYCLE_2) | instskip(NEXT) | instid1(SALU_CYCLE_3)
	s_fmamk_f32 s17, s22, 0x4f800000, s17
	v_s_rcp_f32 s17, s17
	s_delay_alu instid0(TRANS32_DEP_1) | instskip(NEXT) | instid1(SALU_CYCLE_3)
	s_mul_f32 s17, s17, 0x5f7ffffc
	s_mul_f32 s22, s17, 0x2f800000
	s_delay_alu instid0(SALU_CYCLE_3) | instskip(NEXT) | instid1(SALU_CYCLE_3)
	s_trunc_f32 s22, s22
	s_fmamk_f32 s17, s22, 0xcf800000, s17
	s_cvt_u32_f32 s29, s22
	s_delay_alu instid0(SALU_CYCLE_2) | instskip(NEXT) | instid1(SALU_CYCLE_3)
	s_cvt_u32_f32 s28, s17
	s_mul_u64 s[34:35], s[30:31], s[28:29]
	s_delay_alu instid0(SALU_CYCLE_1)
	s_mul_hi_u32 s37, s28, s35
	s_mul_i32 s36, s28, s35
	s_mul_hi_u32 s22, s28, s34
	s_mul_i32 s27, s29, s34
	s_add_nc_u64 s[36:37], s[22:23], s[36:37]
	s_mul_hi_u32 s17, s29, s34
	s_mul_hi_u32 s33, s29, s35
	s_add_co_u32 s22, s36, s27
	s_add_co_ci_u32 s22, s37, s17
	s_mul_i32 s34, s29, s35
	s_add_co_ci_u32 s35, s33, 0
	s_delay_alu instid0(SALU_CYCLE_1) | instskip(NEXT) | instid1(SALU_CYCLE_1)
	s_add_nc_u64 s[34:35], s[22:23], s[34:35]
	s_add_co_u32 s28, s28, s34
	s_cselect_b32 s17, -1, 0
	s_delay_alu instid0(SALU_CYCLE_1) | instskip(SKIP_1) | instid1(SALU_CYCLE_1)
	s_cmp_lg_u32 s17, 0
	s_add_co_ci_u32 s29, s29, s35
	s_mul_u64 s[30:31], s[30:31], s[28:29]
	s_delay_alu instid0(SALU_CYCLE_1)
	s_mul_hi_u32 s35, s28, s31
	s_mul_i32 s34, s28, s31
	s_mul_hi_u32 s22, s28, s30
	s_mul_i32 s27, s29, s30
	s_add_nc_u64 s[34:35], s[22:23], s[34:35]
	s_mul_hi_u32 s17, s29, s30
	s_mul_hi_u32 s33, s29, s31
	s_add_co_u32 s22, s34, s27
	s_add_co_ci_u32 s22, s35, s17
	s_mul_i32 s30, s29, s31
	s_add_co_ci_u32 s31, s33, 0
	s_delay_alu instid0(SALU_CYCLE_1) | instskip(NEXT) | instid1(SALU_CYCLE_1)
	s_add_nc_u64 s[30:31], s[22:23], s[30:31]
	s_add_co_u32 s17, s28, s30
	s_cselect_b32 s22, -1, 0
	s_delay_alu instid0(SALU_CYCLE_1) | instskip(SKIP_2) | instid1(SALU_CYCLE_1)
	s_cmp_lg_u32 s22, 0
	s_add_co_ci_u32 s27, s29, s31
	s_ashr_i32 s28, s21, 31
	s_mov_b32 s29, s28
	s_delay_alu instid0(SALU_CYCLE_1) | instskip(NEXT) | instid1(SALU_CYCLE_1)
	s_add_nc_u64 s[30:31], s[20:21], s[28:29]
	s_xor_b64 s[30:31], s[30:31], s[28:29]
	s_delay_alu instid0(SALU_CYCLE_1)
	s_mul_hi_u32 s35, s30, s27
	s_mul_i32 s34, s30, s27
	s_mul_hi_u32 s22, s30, s17
	s_mul_hi_u32 s33, s31, s17
	s_mul_i32 s17, s31, s17
	s_add_nc_u64 s[34:35], s[22:23], s[34:35]
	s_mul_hi_u32 s21, s31, s27
	s_add_co_u32 s17, s34, s17
	s_add_co_ci_u32 s22, s35, s33
	s_mul_i32 s36, s31, s27
	s_add_co_ci_u32 s37, s21, 0
	s_delay_alu instid0(SALU_CYCLE_1) | instskip(NEXT) | instid1(SALU_CYCLE_1)
	s_add_nc_u64 s[34:35], s[22:23], s[36:37]
	s_and_b64 s[36:37], s[34:35], 0xffffffff00000000
	s_delay_alu instid0(SALU_CYCLE_1) | instskip(NEXT) | instid1(SALU_CYCLE_1)
	s_or_b32 s36, s36, s34
	s_mul_u64 s[34:35], s[24:25], s[36:37]
	s_add_nc_u64 s[38:39], s[36:37], 1
	s_sub_co_u32 s17, s30, s34
	s_cselect_b32 s21, -1, 0
	s_sub_co_i32 s22, s31, s35
	s_cmp_lg_u32 s21, 0
	s_add_nc_u64 s[40:41], s[36:37], 2
	s_sub_co_ci_u32 s22, s22, s25
	s_sub_co_u32 s27, s17, s24
	s_cselect_b32 s30, -1, 0
	s_delay_alu instid0(SALU_CYCLE_1) | instskip(SKIP_1) | instid1(SALU_CYCLE_1)
	s_cmp_lg_u32 s30, 0
	s_sub_co_ci_u32 s22, s22, 0
	s_cmp_ge_u32 s22, s25
	s_cselect_b32 s30, -1, 0
	s_cmp_ge_u32 s27, s24
	s_cselect_b32 s27, -1, 0
	s_cmp_eq_u32 s22, s25
	s_cselect_b32 s22, s27, s30
	s_delay_alu instid0(SALU_CYCLE_1) | instskip(SKIP_4) | instid1(SALU_CYCLE_1)
	s_cmp_lg_u32 s22, 0
	s_cselect_b32 s22, s40, s38
	s_cselect_b32 s27, s41, s39
	s_cmp_lg_u32 s21, 0
	s_sub_co_ci_u32 s21, s31, s35
	s_cmp_ge_u32 s21, s25
	s_cselect_b32 s30, -1, 0
	s_cmp_ge_u32 s17, s24
	s_cselect_b32 s17, -1, 0
	s_cmp_eq_u32 s21, s25
	s_cselect_b32 s17, s17, s30
	s_delay_alu instid0(SALU_CYCLE_1) | instskip(SKIP_3) | instid1(SALU_CYCLE_1)
	s_cmp_lg_u32 s17, 0
	s_cselect_b32 s25, s27, s37
	s_cselect_b32 s24, s22, s36
	s_xor_b64 s[12:13], s[28:29], s[12:13]
	s_xor_b64 s[24:25], s[24:25], s[12:13]
	s_delay_alu instid0(SALU_CYCLE_1)
	s_sub_nc_u64 s[12:13], s[24:25], s[12:13]
	s_and_not1_b32 vcc_lo, exec_lo, s23
	s_cbranch_vccnz .LBB4_6
.LBB4_5:
	v_cvt_f32_u32_e32 v1, s2
	s_sub_co_i32 s13, 0, s2
	s_delay_alu instid0(VALU_DEP_1) | instskip(SKIP_1) | instid1(TRANS32_DEP_1)
	v_rcp_iflag_f32_e32 v1, v1
	v_nop
	v_mul_f32_e32 v1, 0x4f7ffffe, v1
	s_delay_alu instid0(VALU_DEP_1) | instskip(NEXT) | instid1(VALU_DEP_1)
	v_cvt_u32_f32_e32 v1, v1
	v_readfirstlane_b32 s12, v1
	s_mul_i32 s13, s13, s12
	s_delay_alu instid0(SALU_CYCLE_1) | instskip(NEXT) | instid1(SALU_CYCLE_1)
	s_mul_hi_u32 s13, s12, s13
	s_add_co_i32 s12, s12, s13
	s_delay_alu instid0(SALU_CYCLE_1) | instskip(NEXT) | instid1(SALU_CYCLE_1)
	s_mul_hi_u32 s12, s20, s12
	s_mul_i32 s13, s12, s2
	s_add_co_i32 s17, s12, 1
	s_sub_co_i32 s13, s20, s13
	s_delay_alu instid0(SALU_CYCLE_1)
	s_sub_co_i32 s20, s13, s2
	s_cmp_ge_u32 s13, s2
	s_cselect_b32 s12, s17, s12
	s_cselect_b32 s13, s20, s13
	s_add_co_i32 s17, s12, 1
	s_cmp_ge_u32 s13, s2
	s_cselect_b32 s12, s17, s12
.LBB4_6:
	s_add_nc_u64 s[18:19], s[18:19], 1
	s_delay_alu instid0(SALU_CYCLE_1) | instskip(NEXT) | instid1(SALU_CYCLE_1)
	s_mul_u64 s[18:19], s[18:19], s[10:11]
	s_add_nc_u64 s[18:19], s[18:19], -1
	s_delay_alu instid0(SALU_CYCLE_1) | instskip(NEXT) | instid1(SALU_CYCLE_1)
	s_or_b64 s[20:21], s[18:19], s[2:3]
	s_and_b64 s[20:21], s[20:21], 0xffffffff00000000
	s_delay_alu instid0(SALU_CYCLE_1)
	s_cmp_lg_u64 s[20:21], 0
	s_cbranch_scc0 .LBB4_47
; %bb.7:
	s_ashr_i32 s20, s3, 31
	s_delay_alu instid0(SALU_CYCLE_1) | instskip(NEXT) | instid1(SALU_CYCLE_1)
	s_mov_b32 s21, s20
	s_add_nc_u64 s[22:23], s[2:3], s[20:21]
	s_delay_alu instid0(SALU_CYCLE_1) | instskip(SKIP_4) | instid1(SALU_CYCLE_2)
	s_xor_b64 s[24:25], s[22:23], s[20:21]
	s_mov_b32 s23, 0
	s_cvt_f32_u32 s3, s24
	s_cvt_f32_u32 s11, s25
	s_sub_nc_u64 s[30:31], 0, s[24:25]
	s_fmamk_f32 s3, s11, 0x4f800000, s3
	s_delay_alu instid0(SALU_CYCLE_3) | instskip(NEXT) | instid1(TRANS32_DEP_1)
	v_s_rcp_f32 s3, s3
	s_mul_f32 s3, s3, 0x5f7ffffc
	s_delay_alu instid0(SALU_CYCLE_3) | instskip(NEXT) | instid1(SALU_CYCLE_3)
	s_mul_f32 s11, s3, 0x2f800000
	s_trunc_f32 s11, s11
	s_delay_alu instid0(SALU_CYCLE_3) | instskip(SKIP_1) | instid1(SALU_CYCLE_2)
	s_fmamk_f32 s3, s11, 0xcf800000, s3
	s_cvt_u32_f32 s29, s11
	s_cvt_u32_f32 s28, s3
	s_delay_alu instid0(SALU_CYCLE_3) | instskip(NEXT) | instid1(SALU_CYCLE_1)
	s_mul_u64 s[34:35], s[30:31], s[28:29]
	s_mul_hi_u32 s37, s28, s35
	s_mul_i32 s36, s28, s35
	s_mul_hi_u32 s22, s28, s34
	s_mul_i32 s11, s29, s34
	s_add_nc_u64 s[36:37], s[22:23], s[36:37]
	s_mul_hi_u32 s3, s29, s34
	s_mul_hi_u32 s13, s29, s35
	s_add_co_u32 s11, s36, s11
	s_add_co_ci_u32 s22, s37, s3
	s_mul_i32 s34, s29, s35
	s_add_co_ci_u32 s35, s13, 0
	s_delay_alu instid0(SALU_CYCLE_1) | instskip(NEXT) | instid1(SALU_CYCLE_1)
	s_add_nc_u64 s[34:35], s[22:23], s[34:35]
	s_add_co_u32 s28, s28, s34
	s_cselect_b32 s3, -1, 0
	s_delay_alu instid0(SALU_CYCLE_1) | instskip(SKIP_1) | instid1(SALU_CYCLE_1)
	s_cmp_lg_u32 s3, 0
	s_add_co_ci_u32 s29, s29, s35
	s_mul_u64 s[30:31], s[30:31], s[28:29]
	s_delay_alu instid0(SALU_CYCLE_1)
	s_mul_hi_u32 s35, s28, s31
	s_mul_i32 s34, s28, s31
	s_mul_hi_u32 s22, s28, s30
	s_mul_i32 s11, s29, s30
	s_add_nc_u64 s[34:35], s[22:23], s[34:35]
	s_mul_hi_u32 s3, s29, s30
	s_mul_hi_u32 s13, s29, s31
	s_add_co_u32 s11, s34, s11
	s_add_co_ci_u32 s22, s35, s3
	s_mul_i32 s30, s29, s31
	s_add_co_ci_u32 s31, s13, 0
	s_delay_alu instid0(SALU_CYCLE_1) | instskip(NEXT) | instid1(SALU_CYCLE_1)
	s_add_nc_u64 s[30:31], s[22:23], s[30:31]
	s_add_co_u32 s3, s28, s30
	s_cselect_b32 s11, -1, 0
	s_delay_alu instid0(SALU_CYCLE_1) | instskip(SKIP_2) | instid1(SALU_CYCLE_1)
	s_cmp_lg_u32 s11, 0
	s_add_co_ci_u32 s11, s29, s31
	s_ashr_i32 s28, s19, 31
	s_mov_b32 s29, s28
	s_delay_alu instid0(SALU_CYCLE_1) | instskip(NEXT) | instid1(SALU_CYCLE_1)
	s_add_nc_u64 s[30:31], s[18:19], s[28:29]
	s_xor_b64 s[30:31], s[30:31], s[28:29]
	s_delay_alu instid0(SALU_CYCLE_1)
	s_mul_hi_u32 s35, s30, s11
	s_mul_i32 s34, s30, s11
	s_mul_hi_u32 s22, s30, s3
	s_mul_hi_u32 s17, s31, s3
	s_mul_i32 s3, s31, s3
	s_add_nc_u64 s[34:35], s[22:23], s[34:35]
	s_mul_hi_u32 s13, s31, s11
	s_add_co_u32 s3, s34, s3
	s_add_co_ci_u32 s22, s35, s17
	s_mul_i32 s36, s31, s11
	s_add_co_ci_u32 s37, s13, 0
	s_delay_alu instid0(SALU_CYCLE_1) | instskip(NEXT) | instid1(SALU_CYCLE_1)
	s_add_nc_u64 s[34:35], s[22:23], s[36:37]
	s_and_b64 s[36:37], s[34:35], 0xffffffff00000000
	s_delay_alu instid0(SALU_CYCLE_1) | instskip(NEXT) | instid1(SALU_CYCLE_1)
	s_or_b32 s36, s36, s34
	s_mul_u64 s[34:35], s[24:25], s[36:37]
	s_add_nc_u64 s[38:39], s[36:37], 1
	s_sub_co_u32 s3, s30, s34
	s_cselect_b32 s11, -1, 0
	s_sub_co_i32 s13, s31, s35
	s_cmp_lg_u32 s11, 0
	s_add_nc_u64 s[40:41], s[36:37], 2
	s_sub_co_ci_u32 s13, s13, s25
	s_sub_co_u32 s17, s3, s24
	s_cselect_b32 s19, -1, 0
	s_delay_alu instid0(SALU_CYCLE_1) | instskip(SKIP_1) | instid1(SALU_CYCLE_1)
	s_cmp_lg_u32 s19, 0
	s_sub_co_ci_u32 s13, s13, 0
	s_cmp_ge_u32 s13, s25
	s_cselect_b32 s19, -1, 0
	s_cmp_ge_u32 s17, s24
	s_cselect_b32 s17, -1, 0
	s_cmp_eq_u32 s13, s25
	s_cselect_b32 s13, s17, s19
	s_delay_alu instid0(SALU_CYCLE_1) | instskip(SKIP_4) | instid1(SALU_CYCLE_1)
	s_cmp_lg_u32 s13, 0
	s_cselect_b32 s13, s40, s38
	s_cselect_b32 s17, s41, s39
	s_cmp_lg_u32 s11, 0
	s_sub_co_ci_u32 s11, s31, s35
	s_cmp_ge_u32 s11, s25
	s_cselect_b32 s19, -1, 0
	s_cmp_ge_u32 s3, s24
	s_cselect_b32 s3, -1, 0
	s_cmp_eq_u32 s11, s25
	s_cselect_b32 s3, s3, s19
	s_delay_alu instid0(SALU_CYCLE_1) | instskip(SKIP_3) | instid1(SALU_CYCLE_1)
	s_cmp_lg_u32 s3, 0
	s_cselect_b32 s25, s17, s37
	s_cselect_b32 s24, s13, s36
	s_xor_b64 s[20:21], s[28:29], s[20:21]
	s_xor_b64 s[24:25], s[24:25], s[20:21]
	s_delay_alu instid0(SALU_CYCLE_1)
	s_sub_nc_u64 s[20:21], s[24:25], s[20:21]
	s_load_b32 s17, s[0:1], 0x3c
	s_cbranch_execnz .LBB4_9
.LBB4_8:
	v_cvt_f32_u32_e32 v1, s2
	s_sub_co_i32 s11, 0, s2
	s_delay_alu instid0(VALU_DEP_1) | instskip(SKIP_1) | instid1(TRANS32_DEP_1)
	v_rcp_iflag_f32_e32 v1, v1
	v_nop
	v_mul_f32_e32 v1, 0x4f7ffffe, v1
	s_delay_alu instid0(VALU_DEP_1) | instskip(NEXT) | instid1(VALU_DEP_1)
	v_cvt_u32_f32_e32 v1, v1
	v_readfirstlane_b32 s3, v1
	s_mul_i32 s11, s11, s3
	s_delay_alu instid0(SALU_CYCLE_1) | instskip(NEXT) | instid1(SALU_CYCLE_1)
	s_mul_hi_u32 s11, s3, s11
	s_add_co_i32 s3, s3, s11
	s_delay_alu instid0(SALU_CYCLE_1) | instskip(NEXT) | instid1(SALU_CYCLE_1)
	s_mul_hi_u32 s3, s18, s3
	s_mul_i32 s11, s3, s2
	s_add_co_i32 s13, s3, 1
	s_sub_co_i32 s11, s18, s11
	s_delay_alu instid0(SALU_CYCLE_1)
	s_sub_co_i32 s18, s11, s2
	s_cmp_ge_u32 s11, s2
	s_cselect_b32 s3, s13, s3
	s_cselect_b32 s11, s18, s11
	s_add_co_i32 s13, s3, 1
	s_cmp_ge_u32 s11, s2
	s_cselect_b32 s20, s13, s3
.LBB4_9:
	s_bfe_u32 s2, ttmp6, 0x40010
	s_bfe_u32 s3, ttmp6, 0x40004
	s_add_co_i32 s2, s2, 1
	v_bfe_u32 v1, v0, 10, 10
	s_mul_i32 s11, ttmp7, s2
	s_wait_kmcnt 0x0
	s_lshr_b32 s2, s17, 16
	s_add_co_i32 s3, s3, s11
	s_cmp_eq_u32 s26, 0
	s_mov_b32 s11, exec_lo
	s_cselect_b32 s3, ttmp7, s3
	s_delay_alu instid0(SALU_CYCLE_1) | instskip(SKIP_1) | instid1(VALU_DEP_1)
	v_mad_u32 v2, s3, s2, v1
	s_mov_b32 s3, 0
	v_cmpx_gt_i32_e64 s8, v2
	s_cbranch_execz .LBB4_44
; %bb.10:
	s_mul_i32 s7, s7, s10
	s_ashr_i32 s11, s8, 31
	s_add_co_i32 s7, s12, s7
	s_mov_b32 s10, s8
	s_ashr_i32 s13, s9, 31
	s_mov_b32 s12, s9
	s_sub_co_i32 s30, s20, s7
	s_mul_u64 s[18:19], s[12:13], s[10:11]
	s_mul_i32 s4, s4, s16
	s_mul_u64 s[14:15], s[18:19], s[14:15]
	s_add_co_i32 s30, s30, 1
	s_add_co_i32 s4, s4, s7
	s_lshl_b64 s[18:19], s[14:15], 3
	s_and_b32 s31, s17, 0xffff
	s_ashr_i32 s15, s5, 31
	s_ashr_i32 s7, s6, 31
	s_cmp_gt_i32 s30, 0
	v_cvt_f32_u32_e32 v3, s10
	s_cselect_b32 s33, -1, 0
	s_ashr_i32 s34, s8, 31
	s_abs_i32 s36, s9
	s_add_co_i32 s14, s8, s34
	v_rcp_iflag_f32_e32 v3, v3
	s_xor_b32 s35, s14, s34
	s_clause 0x1
	s_load_b32 s37, s[0:1], 0x34
	s_load_b128 s[20:23], s[0:1], 0x0
	v_cvt_f32_u32_e32 v1, s35
	s_wait_xcnt 0x0
	s_cvt_f32_u32 s0, s36
	v_and_b32_e32 v20, 0x3ff, v0
	s_mul_i32 s24, s6, s5
	v_mul_f32_e32 v3, 0x4f7ffffe, v3
	v_rcp_iflag_f32_e32 v1, v1
	v_rcp_iflag_f32_e32 v4, s0
	s_mul_i32 s26, s24, s4
	s_sub_co_i32 s1, 0, s35
	v_cvt_u32_f32_e32 v3, v3
	s_sub_co_i32 s4, 0, s8
	s_ashr_i32 s27, s26, 31
	v_mul_f32_e32 v5, 0x4f7ffffe, v1
	v_cvt_f64_i32_e32 v[0:1], s30
	v_readfirstlane_b32 s0, v4
	s_ashr_i32 s25, s24, 31
	s_mov_b32 s14, s5
	v_cvt_u32_f32_e32 v6, v5
	v_mul_lo_u32 v5, s4, v3
	s_mul_f32 s0, s0, 0x4f7ffffe
	s_wait_kmcnt 0x0
	s_mul_i32 s37, s37, s2
	s_sub_co_i32 s2, 0, s36
	v_mul_lo_u32 v4, s1, v6
	s_cvt_u32_f32 s1, s0
	v_cmp_gt_i32_e64 s0, s9, v20
	s_add_nc_u64 s[16:17], s[22:23], s[18:19]
	s_lshl_b64 s[18:19], s[26:27], 3
	s_mul_i32 s2, s2, s1
	s_mov_b32 s5, s3
	v_mul_hi_u32 v7, v3, v5
	s_mul_hi_u32 s2, s1, s2
	s_add_nc_u64 s[18:19], s[20:21], s[18:19]
	s_add_co_i32 s4, s1, s2
	v_mul_hi_u32 v4, v6, v4
	v_mov_b32_e32 v5, 0
	s_mov_b64 s[20:21], 0xffffffff
	s_lshl_b64 s[22:23], s[24:25], 3
	s_ashr_i32 s24, s11, 31
	s_mov_b32 s38, 0
	s_delay_alu instid0(VALU_DEP_2)
	v_dual_add_nc_u32 v22, v3, v7 :: v_dual_add_nc_u32 v21, v6, v4
	s_branch .LBB4_12
.LBB4_11:                               ;   in Loop: Header=BB4_12 Depth=1
	s_or_b32 exec_lo, exec_lo, s25
	v_add_nc_u32_e32 v2, s37, v2
	s_delay_alu instid0(VALU_DEP_1) | instskip(SKIP_1) | instid1(SALU_CYCLE_1)
	v_cmp_le_i32_e32 vcc_lo, s8, v2
	s_or_b32 s38, vcc_lo, s38
	s_and_not1_b32 exec_lo, exec_lo, s38
	s_cbranch_execz .LBB4_44
.LBB4_12:                               ; =>This Loop Header: Depth=1
                                        ;     Child Loop BB4_27 Depth 2
                                        ;       Child Loop BB4_38 Depth 3
                                        ;         Child Loop BB4_41 Depth 4
                                        ;           Child Loop BB4_43 Depth 5
	v_dual_mov_b32 v6, v5 :: v_dual_ashrrev_i32 v3, 31, v2
	s_delay_alu instid0(VALU_DEP_1) | instskip(NEXT) | instid1(VALU_DEP_1)
	v_or_b32_e32 v7, s11, v3
	v_cmp_ne_u64_e32 vcc_lo, 0, v[6:7]
                                        ; implicit-def: $vgpr6_vgpr7
	s_and_saveexec_b32 s1, vcc_lo
	s_delay_alu instid0(SALU_CYCLE_1)
	s_xor_b32 s1, exec_lo, s1
	s_cbranch_execz .LBB4_14
; %bb.13:                               ;   in Loop: Header=BB4_12 Depth=1
	v_ashrrev_i32_e32 v4, 31, v2
	s_delay_alu instid0(VALU_DEP_1) | instskip(NEXT) | instid1(VALU_DEP_1)
	v_add_nc_u32_e32 v6, v2, v4
	v_xor_b32_e32 v6, v6, v4
	s_delay_alu instid0(VALU_DEP_1) | instskip(NEXT) | instid1(VALU_DEP_1)
	v_mul_hi_u32 v7, v6, v21
	v_mul_lo_u32 v8, v7, s35
	s_delay_alu instid0(VALU_DEP_1) | instskip(SKIP_1) | instid1(VALU_DEP_2)
	v_dual_sub_nc_u32 v6, v6, v8 :: v_dual_add_nc_u32 v8, 1, v7
	v_xor_b32_e32 v4, s34, v4
	v_subrev_nc_u32_e32 v9, s35, v6
	v_cmp_le_u32_e32 vcc_lo, s35, v6
	s_delay_alu instid0(VALU_DEP_2) | instskip(NEXT) | instid1(VALU_DEP_1)
	v_dual_cndmask_b32 v6, v6, v9 :: v_dual_cndmask_b32 v7, v7, v8
	v_cmp_le_u32_e32 vcc_lo, s35, v6
	s_delay_alu instid0(VALU_DEP_2) | instskip(NEXT) | instid1(VALU_DEP_1)
	v_add_nc_u32_e32 v8, 1, v7
	v_cndmask_b32_e32 v6, v7, v8, vcc_lo
	s_delay_alu instid0(VALU_DEP_1) | instskip(NEXT) | instid1(VALU_DEP_1)
	v_xor_b32_e32 v6, v6, v4
	v_sub_nc_u32_e32 v6, v6, v4
	s_delay_alu instid0(VALU_DEP_1)
	v_ashrrev_i32_e32 v7, 31, v6
.LBB4_14:                               ;   in Loop: Header=BB4_12 Depth=1
	s_and_not1_saveexec_b32 s1, s1
	s_cbranch_execz .LBB4_16
; %bb.15:                               ;   in Loop: Header=BB4_12 Depth=1
	v_mul_hi_u32 v4, v2, v22
	s_delay_alu instid0(VALU_DEP_1) | instskip(NEXT) | instid1(VALU_DEP_1)
	v_mul_lo_u32 v6, v4, s10
	v_dual_add_nc_u32 v7, 1, v4 :: v_dual_sub_nc_u32 v6, v2, v6
	s_delay_alu instid0(VALU_DEP_1) | instskip(SKIP_1) | instid1(VALU_DEP_2)
	v_subrev_nc_u32_e32 v8, s10, v6
	v_cmp_le_u32_e32 vcc_lo, s10, v6
	v_dual_cndmask_b32 v6, v6, v8, vcc_lo :: v_dual_cndmask_b32 v4, v4, v7, vcc_lo
	s_delay_alu instid0(VALU_DEP_1) | instskip(NEXT) | instid1(VALU_DEP_2)
	v_cmp_le_u32_e32 vcc_lo, s10, v6
	v_add_nc_u32_e32 v7, 1, v4
	s_delay_alu instid0(VALU_DEP_1) | instskip(NEXT) | instid1(VALU_DEP_1)
	v_cndmask_b32_e32 v4, v4, v7, vcc_lo
	v_mov_b64_e32 v[6:7], v[4:5]
.LBB4_16:                               ;   in Loop: Header=BB4_12 Depth=1
	s_or_b32 exec_lo, exec_lo, s1
	s_delay_alu instid0(VALU_DEP_1) | instskip(NEXT) | instid1(VALU_DEP_1)
	v_mul_u64_e32 v[8:9], s[10:11], v[6:7]
	v_sub_nc_u64_e32 v[8:9], v[2:3], v[8:9]
	s_delay_alu instid0(VALU_DEP_1) | instskip(NEXT) | instid1(VALU_DEP_1)
	v_mul_u64_e32 v[10:11], s[14:15], v[8:9]
	v_dual_mov_b32 v8, v5 :: v_dual_bitop2_b32 v9, s11, v11 bitop3:0x54
	s_delay_alu instid0(VALU_DEP_1) | instskip(SKIP_1) | instid1(SALU_CYCLE_1)
	v_cmp_ne_u64_e32 vcc_lo, 0, v[8:9]
                                        ; implicit-def: $vgpr8_vgpr9
	s_and_saveexec_b32 s1, vcc_lo
	s_xor_b32 s28, exec_lo, s1
	s_cbranch_execz .LBB4_18
; %bb.17:                               ;   in Loop: Header=BB4_12 Depth=1
	s_mov_b32 s25, s24
	v_dual_mov_b32 v15, v5 :: v_dual_ashrrev_i32 v8, 31, v11
	s_add_nc_u64 s[26:27], s[10:11], s[24:25]
	v_mov_b32_e32 v19, v5
	s_xor_b64 s[26:27], s[26:27], s[24:25]
	s_delay_alu instid0(VALU_DEP_2) | instskip(SKIP_3) | instid1(VALU_DEP_1)
	v_mov_b32_e32 v9, v8
	s_cvt_f32_u32 s1, s26
	s_cvt_f32_u32 s2, s27
	s_sub_nc_u64 s[42:43], 0, s[26:27]
	v_add_nc_u64_e32 v[10:11], v[10:11], v[8:9]
	s_delay_alu instid0(SALU_CYCLE_1) | instskip(NEXT) | instid1(SALU_CYCLE_3)
	s_fmamk_f32 s1, s2, 0x4f800000, s1
	v_s_rcp_f32 s1, s1
	s_delay_alu instid0(VALU_DEP_1) | instskip(NEXT) | instid1(VALU_DEP_2)
	v_xor_b32_e32 v4, v10, v8
	v_xor_b32_e32 v14, v11, v8
	;; [unrolled: 1-line block ×3, first 2 shown]
	s_delay_alu instid0(TRANS32_DEP_1) | instskip(NEXT) | instid1(SALU_CYCLE_3)
	s_mul_f32 s1, s1, 0x5f7ffffc
	s_mul_f32 s2, s1, 0x2f800000
	s_delay_alu instid0(SALU_CYCLE_3) | instskip(NEXT) | instid1(SALU_CYCLE_3)
	s_trunc_f32 s2, s2
	s_fmamk_f32 s1, s2, 0xcf800000, s1
	s_cvt_u32_f32 s41, s2
	s_delay_alu instid0(SALU_CYCLE_2) | instskip(NEXT) | instid1(SALU_CYCLE_3)
	s_cvt_u32_f32 s40, s1
	s_mul_u64 s[44:45], s[42:43], s[40:41]
	s_delay_alu instid0(SALU_CYCLE_1)
	s_mul_hi_u32 s47, s40, s45
	s_mul_i32 s46, s40, s45
	s_mul_hi_u32 s2, s40, s44
	s_mul_i32 s25, s41, s44
	s_add_nc_u64 s[46:47], s[2:3], s[46:47]
	s_mul_hi_u32 s1, s41, s44
	s_mul_hi_u32 s29, s41, s45
	s_add_co_u32 s2, s46, s25
	s_add_co_ci_u32 s2, s47, s1
	s_mul_i32 s44, s41, s45
	s_add_co_ci_u32 s45, s29, 0
	s_delay_alu instid0(SALU_CYCLE_1) | instskip(NEXT) | instid1(SALU_CYCLE_1)
	s_add_nc_u64 s[44:45], s[2:3], s[44:45]
	s_add_co_u32 s40, s40, s44
	s_cselect_b32 s1, -1, 0
	s_delay_alu instid0(SALU_CYCLE_1) | instskip(SKIP_1) | instid1(SALU_CYCLE_1)
	s_cmp_lg_u32 s1, 0
	s_add_co_ci_u32 s41, s41, s45
	s_mul_u64 s[42:43], s[42:43], s[40:41]
	s_delay_alu instid0(SALU_CYCLE_1)
	s_mul_hi_u32 s45, s40, s43
	s_mul_i32 s44, s40, s43
	s_mul_hi_u32 s2, s40, s42
	s_mul_i32 s25, s41, s42
	s_add_nc_u64 s[44:45], s[2:3], s[44:45]
	s_mul_hi_u32 s1, s41, s42
	s_mul_hi_u32 s29, s41, s43
	s_add_co_u32 s2, s44, s25
	s_add_co_ci_u32 s2, s45, s1
	s_mul_i32 s42, s41, s43
	s_add_co_ci_u32 s43, s29, 0
	s_delay_alu instid0(SALU_CYCLE_1) | instskip(NEXT) | instid1(SALU_CYCLE_1)
	s_add_nc_u64 s[42:43], s[2:3], s[42:43]
	s_add_co_u32 s40, s40, s42
	s_cselect_b32 s1, -1, 0
	v_mul_hi_u32 v18, v4, s40
	s_cmp_lg_u32 s1, 0
	s_add_co_ci_u32 s2, s41, s43
	s_and_b64 s[42:43], s[40:41], s[20:21]
	v_mul_u64_e32 v[12:13], s[2:3], v[4:5]
	v_mul_u64_e32 v[10:11], s[42:43], v[14:15]
	;; [unrolled: 1-line block ×3, first 2 shown]
	s_delay_alu instid0(VALU_DEP_3) | instskip(NEXT) | instid1(VALU_DEP_1)
	v_add_nc_u64_e32 v[12:13], v[18:19], v[12:13]
	v_add_co_u32 v7, vcc_lo, v12, v10
	s_delay_alu instid0(VALU_DEP_2) | instskip(NEXT) | instid1(VALU_DEP_4)
	v_add_co_ci_u32_e32 v18, vcc_lo, v13, v11, vcc_lo
	v_add_co_ci_u32_e32 v17, vcc_lo, 0, v17, vcc_lo
	s_delay_alu instid0(VALU_DEP_1) | instskip(NEXT) | instid1(VALU_DEP_1)
	v_add_nc_u64_e32 v[10:11], v[18:19], v[16:17]
	v_mul_u64_e32 v[12:13], s[26:27], v[10:11]
	s_delay_alu instid0(VALU_DEP_1) | instskip(NEXT) | instid1(VALU_DEP_2)
	v_sub_nc_u32_e32 v7, v14, v13
	v_sub_co_u32 v4, vcc_lo, v4, v12
	s_delay_alu instid0(VALU_DEP_1) | instskip(NEXT) | instid1(VALU_DEP_3)
	v_sub_co_ci_u32_e64 v16, null, v14, v13, vcc_lo
	v_subrev_co_ci_u32_e64 v7, null, s27, v7, vcc_lo
	s_delay_alu instid0(VALU_DEP_3) | instskip(SKIP_1) | instid1(VALU_DEP_3)
	v_sub_co_u32 v9, s1, v4, s26
	v_add_nc_u64_e32 v[14:15], 1, v[10:11]
	v_subrev_co_ci_u32_e64 v7, null, 0, v7, s1
	s_delay_alu instid0(VALU_DEP_3) | instskip(SKIP_1) | instid1(VALU_DEP_3)
	v_cmp_le_u32_e32 vcc_lo, s26, v9
	v_cndmask_b32_e64 v9, 0, -1, vcc_lo
	v_cmp_le_u32_e32 vcc_lo, s27, v7
	v_cndmask_b32_e64 v12, 0, -1, vcc_lo
	;; [unrolled: 2-line block ×4, first 2 shown]
	v_cmp_eq_u32_e32 vcc_lo, s27, v7
	v_cndmask_b32_e32 v7, v12, v9, vcc_lo
	v_cmp_eq_u32_e32 vcc_lo, s27, v16
	v_add_nc_u64_e32 v[12:13], 2, v[10:11]
	v_cndmask_b32_e32 v4, v17, v4, vcc_lo
	s_delay_alu instid0(VALU_DEP_4) | instskip(NEXT) | instid1(VALU_DEP_2)
	v_cmp_ne_u32_e32 vcc_lo, 0, v7
	v_cmp_ne_u32_e64 s1, 0, v4
	s_delay_alu instid0(VALU_DEP_4) | instskip(NEXT) | instid1(VALU_DEP_1)
	v_dual_cndmask_b32 v7, v15, v13 :: v_dual_cndmask_b32 v4, v14, v12
	v_dual_cndmask_b32 v7, v11, v7, s1 :: v_dual_cndmask_b32 v4, v10, v4, s1
	s_delay_alu instid0(VALU_DEP_1) | instskip(NEXT) | instid1(VALU_DEP_2)
	v_dual_mov_b32 v9, v8 :: v_dual_bitop2_b32 v11, v7, v8 bitop3:0x14
	v_xor_b32_e32 v10, v4, v8
	s_delay_alu instid0(VALU_DEP_1)
	v_sub_nc_u64_e32 v[8:9], v[10:11], v[8:9]
                                        ; implicit-def: $vgpr10_vgpr11
.LBB4_18:                               ;   in Loop: Header=BB4_12 Depth=1
	s_and_not1_saveexec_b32 s1, s28
	s_cbranch_execz .LBB4_20
; %bb.19:                               ;   in Loop: Header=BB4_12 Depth=1
	s_delay_alu instid0(VALU_DEP_3) | instskip(NEXT) | instid1(VALU_DEP_1)
	v_mul_hi_u32 v4, v10, v22
	v_mul_lo_u32 v7, v4, s10
	s_delay_alu instid0(VALU_DEP_1) | instskip(NEXT) | instid1(VALU_DEP_1)
	v_dual_add_nc_u32 v8, 1, v4 :: v_dual_sub_nc_u32 v7, v10, v7
	v_subrev_nc_u32_e32 v9, s10, v7
	v_cmp_le_u32_e32 vcc_lo, s10, v7
	s_delay_alu instid0(VALU_DEP_2) | instskip(NEXT) | instid1(VALU_DEP_1)
	v_dual_cndmask_b32 v7, v7, v9 :: v_dual_cndmask_b32 v4, v4, v8
	v_cmp_le_u32_e32 vcc_lo, s10, v7
	s_delay_alu instid0(VALU_DEP_2) | instskip(NEXT) | instid1(VALU_DEP_1)
	v_add_nc_u32_e32 v8, 1, v4
	v_cndmask_b32_e32 v8, v4, v8, vcc_lo
.LBB4_20:                               ;   in Loop: Header=BB4_12 Depth=1
	s_or_b32 exec_lo, exec_lo, s1
	v_add_nc_u64_e32 v[12:13], 1, v[2:3]
	s_delay_alu instid0(VALU_DEP_1) | instskip(NEXT) | instid1(VALU_DEP_1)
	v_mad_nc_u64_u32 v[10:11], v12, s14, -1
	v_mad_u32 v3, v13, s14, v11
	s_delay_alu instid0(VALU_DEP_1) | instskip(NEXT) | instid1(VALU_DEP_1)
	v_mad_u32 v11, v12, s15, v3
	v_dual_mov_b32 v12, v5 :: v_dual_bitop2_b32 v13, s11, v11 bitop3:0x54
	s_delay_alu instid0(VALU_DEP_1) | instskip(SKIP_1) | instid1(SALU_CYCLE_1)
	v_cmp_ne_u64_e32 vcc_lo, 0, v[12:13]
                                        ; implicit-def: $vgpr12_vgpr13
	s_and_saveexec_b32 s1, vcc_lo
	s_xor_b32 s28, exec_lo, s1
	s_cbranch_execnz .LBB4_23
; %bb.21:                               ;   in Loop: Header=BB4_12 Depth=1
	s_and_not1_saveexec_b32 s1, s28
	s_cbranch_execnz .LBB4_24
.LBB4_22:                               ;   in Loop: Header=BB4_12 Depth=1
	s_or_b32 exec_lo, exec_lo, s1
	s_and_saveexec_b32 s25, s0
	s_cbranch_execz .LBB4_11
	s_branch .LBB4_25
.LBB4_23:                               ;   in Loop: Header=BB4_12 Depth=1
	s_mov_b32 s25, s24
	v_dual_mov_b32 v17, v5 :: v_dual_ashrrev_i32 v12, 31, v11
	s_add_nc_u64 s[26:27], s[10:11], s[24:25]
	v_mov_b32_e32 v25, v5
	s_xor_b64 s[26:27], s[26:27], s[24:25]
	s_delay_alu instid0(VALU_DEP_2) | instskip(SKIP_3) | instid1(VALU_DEP_1)
	v_mov_b32_e32 v13, v12
	s_cvt_f32_u32 s1, s26
	s_cvt_f32_u32 s2, s27
	s_sub_nc_u64 s[42:43], 0, s[26:27]
	v_add_nc_u64_e32 v[10:11], v[10:11], v[12:13]
	s_delay_alu instid0(SALU_CYCLE_1) | instskip(NEXT) | instid1(SALU_CYCLE_3)
	s_fmamk_f32 s1, s2, 0x4f800000, s1
	v_s_rcp_f32 s1, s1
	s_delay_alu instid0(VALU_DEP_1) | instskip(NEXT) | instid1(VALU_DEP_2)
	v_xor_b32_e32 v4, v10, v12
	v_xor_b32_e32 v16, v11, v12
	;; [unrolled: 1-line block ×3, first 2 shown]
	s_delay_alu instid0(TRANS32_DEP_1) | instskip(NEXT) | instid1(SALU_CYCLE_3)
	s_mul_f32 s1, s1, 0x5f7ffffc
	s_mul_f32 s2, s1, 0x2f800000
	s_delay_alu instid0(SALU_CYCLE_3) | instskip(NEXT) | instid1(SALU_CYCLE_3)
	s_trunc_f32 s2, s2
	s_fmamk_f32 s1, s2, 0xcf800000, s1
	s_cvt_u32_f32 s41, s2
	s_delay_alu instid0(SALU_CYCLE_2) | instskip(NEXT) | instid1(SALU_CYCLE_3)
	s_cvt_u32_f32 s40, s1
	s_mul_u64 s[44:45], s[42:43], s[40:41]
	s_delay_alu instid0(SALU_CYCLE_1)
	s_mul_hi_u32 s47, s40, s45
	s_mul_i32 s46, s40, s45
	s_mul_hi_u32 s2, s40, s44
	s_mul_i32 s25, s41, s44
	s_add_nc_u64 s[46:47], s[2:3], s[46:47]
	s_mul_hi_u32 s1, s41, s44
	s_mul_hi_u32 s29, s41, s45
	s_add_co_u32 s2, s46, s25
	s_add_co_ci_u32 s2, s47, s1
	s_mul_i32 s44, s41, s45
	s_add_co_ci_u32 s45, s29, 0
	s_delay_alu instid0(SALU_CYCLE_1) | instskip(NEXT) | instid1(SALU_CYCLE_1)
	s_add_nc_u64 s[44:45], s[2:3], s[44:45]
	s_add_co_u32 s40, s40, s44
	s_cselect_b32 s1, -1, 0
	s_delay_alu instid0(SALU_CYCLE_1) | instskip(SKIP_1) | instid1(SALU_CYCLE_1)
	s_cmp_lg_u32 s1, 0
	s_add_co_ci_u32 s41, s41, s45
	s_mul_u64 s[42:43], s[42:43], s[40:41]
	s_delay_alu instid0(SALU_CYCLE_1)
	s_mul_hi_u32 s45, s40, s43
	s_mul_i32 s44, s40, s43
	s_mul_hi_u32 s2, s40, s42
	s_mul_i32 s25, s41, s42
	s_add_nc_u64 s[44:45], s[2:3], s[44:45]
	s_mul_hi_u32 s1, s41, s42
	s_mul_hi_u32 s29, s41, s43
	s_add_co_u32 s2, s44, s25
	s_add_co_ci_u32 s2, s45, s1
	s_mul_i32 s42, s41, s43
	s_add_co_ci_u32 s43, s29, 0
	s_delay_alu instid0(SALU_CYCLE_1) | instskip(NEXT) | instid1(SALU_CYCLE_1)
	s_add_nc_u64 s[42:43], s[2:3], s[42:43]
	s_add_co_u32 s40, s40, s42
	s_cselect_b32 s1, -1, 0
	v_mul_hi_u32 v24, v4, s40
	s_cmp_lg_u32 s1, 0
	s_add_co_ci_u32 s2, s41, s43
	s_and_b64 s[42:43], s[40:41], s[20:21]
	v_mul_u64_e32 v[14:15], s[2:3], v[4:5]
	v_mul_u64_e32 v[10:11], s[42:43], v[16:17]
	;; [unrolled: 1-line block ×3, first 2 shown]
	s_delay_alu instid0(VALU_DEP_3) | instskip(NEXT) | instid1(VALU_DEP_1)
	v_add_nc_u64_e32 v[14:15], v[24:25], v[14:15]
	v_add_co_u32 v3, vcc_lo, v14, v10
	s_delay_alu instid0(VALU_DEP_2) | instskip(NEXT) | instid1(VALU_DEP_4)
	v_add_co_ci_u32_e32 v24, vcc_lo, v15, v11, vcc_lo
	v_add_co_ci_u32_e32 v19, vcc_lo, 0, v19, vcc_lo
	s_delay_alu instid0(VALU_DEP_1) | instskip(NEXT) | instid1(VALU_DEP_1)
	v_add_nc_u64_e32 v[10:11], v[24:25], v[18:19]
	v_mul_u64_e32 v[14:15], s[26:27], v[10:11]
	s_delay_alu instid0(VALU_DEP_1) | instskip(NEXT) | instid1(VALU_DEP_2)
	v_sub_nc_u32_e32 v3, v16, v15
	v_sub_co_u32 v4, vcc_lo, v4, v14
	s_delay_alu instid0(VALU_DEP_1) | instskip(NEXT) | instid1(VALU_DEP_3)
	v_sub_co_ci_u32_e64 v9, null, v16, v15, vcc_lo
	v_subrev_co_ci_u32_e64 v3, null, s27, v3, vcc_lo
	s_delay_alu instid0(VALU_DEP_3) | instskip(SKIP_1) | instid1(VALU_DEP_3)
	v_sub_co_u32 v7, s1, v4, s26
	v_add_nc_u64_e32 v[14:15], 2, v[10:11]
	v_subrev_co_ci_u32_e64 v3, null, 0, v3, s1
	s_delay_alu instid0(VALU_DEP_3) | instskip(SKIP_2) | instid1(VALU_DEP_4)
	v_cmp_le_u32_e32 vcc_lo, s26, v7
	v_add_nc_u64_e32 v[16:17], 1, v[10:11]
	v_cndmask_b32_e64 v7, 0, -1, vcc_lo
	v_cmp_le_u32_e32 vcc_lo, s27, v3
	v_cndmask_b32_e64 v13, 0, -1, vcc_lo
	v_cmp_le_u32_e32 vcc_lo, s26, v4
	v_cndmask_b32_e64 v4, 0, -1, vcc_lo
	v_cmp_le_u32_e32 vcc_lo, s27, v9
	v_cndmask_b32_e64 v18, 0, -1, vcc_lo
	v_cmp_eq_u32_e32 vcc_lo, s27, v3
	v_cndmask_b32_e32 v3, v13, v7, vcc_lo
	v_cmp_eq_u32_e32 vcc_lo, s27, v9
	s_delay_alu instid0(VALU_DEP_4) | instskip(NEXT) | instid1(VALU_DEP_3)
	v_cndmask_b32_e32 v4, v18, v4, vcc_lo
	v_cmp_ne_u32_e32 vcc_lo, 0, v3
	s_delay_alu instid0(VALU_DEP_2) | instskip(SKIP_1) | instid1(VALU_DEP_1)
	v_cmp_ne_u32_e64 s1, 0, v4
	v_dual_cndmask_b32 v3, v17, v15 :: v_dual_cndmask_b32 v4, v16, v14
	v_dual_cndmask_b32 v3, v11, v3, s1 :: v_dual_cndmask_b32 v4, v10, v4, s1
	s_delay_alu instid0(VALU_DEP_1) | instskip(NEXT) | instid1(VALU_DEP_2)
	v_dual_mov_b32 v13, v12 :: v_dual_bitop2_b32 v11, v3, v12 bitop3:0x14
	v_xor_b32_e32 v10, v4, v12
	s_delay_alu instid0(VALU_DEP_1)
	v_sub_nc_u64_e32 v[12:13], v[10:11], v[12:13]
                                        ; implicit-def: $vgpr10_vgpr11
	s_and_not1_saveexec_b32 s1, s28
	s_cbranch_execz .LBB4_22
.LBB4_24:                               ;   in Loop: Header=BB4_12 Depth=1
	v_mul_hi_u32 v3, v10, v22
	s_delay_alu instid0(VALU_DEP_1) | instskip(NEXT) | instid1(VALU_DEP_1)
	v_mul_lo_u32 v4, v3, s10
	v_dual_add_nc_u32 v7, 1, v3 :: v_dual_sub_nc_u32 v4, v10, v4
	s_delay_alu instid0(VALU_DEP_1) | instskip(SKIP_1) | instid1(VALU_DEP_2)
	v_subrev_nc_u32_e32 v9, s10, v4
	v_cmp_le_u32_e32 vcc_lo, s10, v4
	v_dual_cndmask_b32 v4, v4, v9 :: v_dual_cndmask_b32 v3, v3, v7
	s_delay_alu instid0(VALU_DEP_1) | instskip(NEXT) | instid1(VALU_DEP_2)
	v_cmp_le_u32_e32 vcc_lo, s10, v4
	v_add_nc_u32_e32 v7, 1, v3
	s_delay_alu instid0(VALU_DEP_1)
	v_cndmask_b32_e32 v12, v3, v7, vcc_lo
	s_or_b32 exec_lo, exec_lo, s1
	s_and_saveexec_b32 s25, s0
	s_cbranch_execz .LBB4_11
.LBB4_25:                               ;   in Loop: Header=BB4_12 Depth=1
	v_mad_u32 v4, v6, s14, v8
	v_mul_lo_u32 v8, v2, s9
	s_mov_b32 s39, 0
	s_delay_alu instid0(VALU_DEP_2) | instskip(SKIP_1) | instid1(VALU_DEP_3)
	v_mul_lo_u32 v10, s6, v4
	v_sub_nc_u32_e32 v3, v12, v4
	v_dual_mov_b32 v4, v20 :: v_dual_ashrrev_i32 v9, 31, v8
	s_delay_alu instid0(VALU_DEP_1) | instskip(NEXT) | instid1(VALU_DEP_3)
	v_lshl_add_u64 v[8:9], v[8:9], 3, s[16:17]
	v_dual_ashrrev_i32 v11, 31, v10 :: v_dual_add_nc_u32 v3, 1, v3
	s_delay_alu instid0(VALU_DEP_1) | instskip(NEXT) | instid1(VALU_DEP_2)
	v_lshl_add_u64 v[10:11], v[10:11], 3, s[18:19]
	v_cvt_f64_i32_e32 v[6:7], v3
	v_cmp_lt_i32_e64 s1, 0, v3
	s_branch .LBB4_27
.LBB4_26:                               ;   in Loop: Header=BB4_27 Depth=2
	v_add_nc_u32_e32 v4, s31, v4
	s_delay_alu instid0(VALU_DEP_1) | instskip(SKIP_1) | instid1(SALU_CYCLE_1)
	v_cmp_le_i32_e32 vcc_lo, s9, v4
	s_or_b32 s39, vcc_lo, s39
	s_and_not1_b32 exec_lo, exec_lo, s39
	s_cbranch_execz .LBB4_11
.LBB4_27:                               ;   Parent Loop BB4_12 Depth=1
                                        ; =>  This Loop Header: Depth=2
                                        ;       Child Loop BB4_38 Depth 3
                                        ;         Child Loop BB4_41 Depth 4
                                        ;           Child Loop BB4_43 Depth 5
	v_mul_u64_e32 v[12:13], s[4:5], v[4:5]
	s_delay_alu instid0(VALU_DEP_1) | instskip(NEXT) | instid1(VALU_DEP_1)
	v_mul_lo_u32 v12, v13, s36
	v_dual_add_nc_u32 v14, 1, v13 :: v_dual_sub_nc_u32 v12, v4, v12
	s_delay_alu instid0(VALU_DEP_1) | instskip(SKIP_1) | instid1(VALU_DEP_2)
	v_subrev_nc_u32_e32 v15, s36, v12
	v_cmp_le_u32_e32 vcc_lo, s36, v12
	v_dual_cndmask_b32 v13, v13, v14 :: v_dual_cndmask_b32 v12, v12, v15
	s_delay_alu instid0(VALU_DEP_1) | instskip(NEXT) | instid1(VALU_DEP_2)
	v_add_nc_u32_e32 v14, 1, v13
	v_cmp_le_u32_e32 vcc_lo, s36, v12
	s_delay_alu instid0(VALU_DEP_2) | instskip(NEXT) | instid1(VALU_DEP_1)
	v_cndmask_b32_e32 v12, v13, v14, vcc_lo
	v_xor_b32_e32 v12, s13, v12
	s_delay_alu instid0(VALU_DEP_1) | instskip(NEXT) | instid1(VALU_DEP_1)
	v_subrev_nc_u32_e32 v12, s13, v12
	v_ashrrev_i32_e32 v13, 31, v12
	s_delay_alu instid0(VALU_DEP_1) | instskip(NEXT) | instid1(VALU_DEP_1)
	v_mul_u64_e32 v[14:15], s[12:13], v[12:13]
	v_sub_nc_u64_e32 v[14:15], v[4:5], v[14:15]
	s_delay_alu instid0(VALU_DEP_1) | instskip(NEXT) | instid1(VALU_DEP_1)
	v_mul_u64_e32 v[16:17], s[6:7], v[14:15]
	v_dual_mov_b32 v14, v5 :: v_dual_bitop2_b32 v15, s13, v17 bitop3:0x54
	s_delay_alu instid0(VALU_DEP_1) | instskip(SKIP_1) | instid1(SALU_CYCLE_1)
	v_cmp_ne_u64_e32 vcc_lo, 0, v[14:15]
                                        ; implicit-def: $vgpr14_vgpr15
	s_and_saveexec_b32 s2, vcc_lo
	s_xor_b32 s40, exec_lo, s2
	s_cbranch_execz .LBB4_29
; %bb.28:                               ;   in Loop: Header=BB4_27 Depth=2
	s_ashr_i32 s26, s13, 31
	v_dual_mov_b32 v19, v5 :: v_dual_ashrrev_i32 v14, 31, v17
	s_mov_b32 s27, s26
	v_dual_mov_b32 v27, v5 :: v_dual_mov_b32 v31, v5
	s_add_nc_u64 s[28:29], s[12:13], s[26:27]
	s_delay_alu instid0(VALU_DEP_2) | instskip(SKIP_1) | instid1(SALU_CYCLE_1)
	v_mov_b32_e32 v15, v14
	s_xor_b64 s[28:29], s[28:29], s[26:27]
	s_cvt_f32_u32 s2, s28
	s_cvt_f32_u32 s27, s29
	s_sub_nc_u64 s[44:45], 0, s[28:29]
	v_add_nc_u64_e32 v[16:17], v[16:17], v[14:15]
	s_delay_alu instid0(SALU_CYCLE_1) | instskip(NEXT) | instid1(SALU_CYCLE_3)
	s_fmamk_f32 s2, s27, 0x4f800000, s2
	v_s_rcp_f32 s2, s2
	s_delay_alu instid0(VALU_DEP_1) | instskip(NEXT) | instid1(VALU_DEP_2)
	v_xor_b32_e32 v18, v16, v14
	v_xor_b32_e32 v26, v17, v14
	;; [unrolled: 1-line block ×3, first 2 shown]
	s_delay_alu instid0(TRANS32_DEP_1) | instskip(NEXT) | instid1(SALU_CYCLE_3)
	s_mul_f32 s2, s2, 0x5f7ffffc
	s_mul_f32 s27, s2, 0x2f800000
	s_delay_alu instid0(SALU_CYCLE_3) | instskip(NEXT) | instid1(SALU_CYCLE_3)
	s_trunc_f32 s27, s27
	s_fmamk_f32 s2, s27, 0xcf800000, s2
	s_cvt_u32_f32 s43, s27
	s_delay_alu instid0(SALU_CYCLE_2) | instskip(NEXT) | instid1(SALU_CYCLE_3)
	s_cvt_u32_f32 s42, s2
	s_mul_u64 s[46:47], s[44:45], s[42:43]
	s_delay_alu instid0(SALU_CYCLE_1)
	s_mul_hi_u32 s49, s42, s47
	s_mul_i32 s48, s42, s47
	s_mul_hi_u32 s2, s42, s46
	s_mul_i32 s41, s43, s46
	s_add_nc_u64 s[48:49], s[2:3], s[48:49]
	s_mul_hi_u32 s27, s43, s46
	s_mul_hi_u32 s50, s43, s47
	s_add_co_u32 s2, s48, s41
	s_add_co_ci_u32 s2, s49, s27
	s_mul_i32 s46, s43, s47
	s_add_co_ci_u32 s47, s50, 0
	s_delay_alu instid0(SALU_CYCLE_1) | instskip(NEXT) | instid1(SALU_CYCLE_1)
	s_add_nc_u64 s[46:47], s[2:3], s[46:47]
	s_add_co_u32 s42, s42, s46
	s_cselect_b32 s2, -1, 0
	s_delay_alu instid0(SALU_CYCLE_1) | instskip(SKIP_1) | instid1(SALU_CYCLE_1)
	s_cmp_lg_u32 s2, 0
	s_add_co_ci_u32 s43, s43, s47
	s_mul_u64 s[44:45], s[44:45], s[42:43]
	s_delay_alu instid0(SALU_CYCLE_1)
	s_mul_hi_u32 s47, s42, s45
	s_mul_i32 s46, s42, s45
	s_mul_hi_u32 s2, s42, s44
	s_mul_i32 s41, s43, s44
	s_add_nc_u64 s[46:47], s[2:3], s[46:47]
	s_mul_hi_u32 s27, s43, s44
	s_mul_hi_u32 s48, s43, s45
	s_add_co_u32 s2, s46, s41
	s_add_co_ci_u32 s2, s47, s27
	s_mul_i32 s44, s43, s45
	s_add_co_ci_u32 s45, s48, 0
	s_delay_alu instid0(SALU_CYCLE_1) | instskip(NEXT) | instid1(SALU_CYCLE_1)
	s_add_nc_u64 s[44:45], s[2:3], s[44:45]
	s_add_co_u32 s42, s42, s44
	s_cselect_b32 s2, -1, 0
	v_mul_hi_u32 v30, v18, s42
	s_cmp_lg_u32 s2, 0
	s_add_co_ci_u32 s2, s43, s45
	s_and_b64 s[44:45], s[42:43], s[20:21]
	v_mul_u64_e32 v[24:25], s[2:3], v[18:19]
	v_mul_u64_e32 v[16:17], s[44:45], v[26:27]
	;; [unrolled: 1-line block ×3, first 2 shown]
	s_delay_alu instid0(VALU_DEP_3) | instskip(NEXT) | instid1(VALU_DEP_1)
	v_add_nc_u64_e32 v[24:25], v[30:31], v[24:25]
	v_add_co_u32 v13, vcc_lo, v24, v16
	s_delay_alu instid0(VALU_DEP_2) | instskip(NEXT) | instid1(VALU_DEP_4)
	v_add_co_ci_u32_e32 v30, vcc_lo, v25, v17, vcc_lo
	v_add_co_ci_u32_e32 v29, vcc_lo, 0, v29, vcc_lo
	s_delay_alu instid0(VALU_DEP_1) | instskip(NEXT) | instid1(VALU_DEP_1)
	v_add_nc_u64_e32 v[16:17], v[30:31], v[28:29]
	v_mul_u64_e32 v[24:25], s[28:29], v[16:17]
	s_delay_alu instid0(VALU_DEP_1) | instskip(NEXT) | instid1(VALU_DEP_2)
	v_sub_nc_u32_e32 v13, v26, v25
	v_sub_co_u32 v15, vcc_lo, v18, v24
	s_delay_alu instid0(VALU_DEP_1) | instskip(NEXT) | instid1(VALU_DEP_3)
	v_sub_co_ci_u32_e64 v23, null, v26, v25, vcc_lo
	v_subrev_co_ci_u32_e64 v13, null, s29, v13, vcc_lo
	s_delay_alu instid0(VALU_DEP_3) | instskip(SKIP_1) | instid1(VALU_DEP_3)
	v_sub_co_u32 v18, s2, v15, s28
	v_add_nc_u64_e32 v[24:25], 1, v[16:17]
	v_subrev_co_ci_u32_e64 v13, null, 0, v13, s2
	s_delay_alu instid0(VALU_DEP_3) | instskip(SKIP_1) | instid1(VALU_DEP_3)
	v_cmp_le_u32_e32 vcc_lo, s28, v18
	v_cndmask_b32_e64 v18, 0, -1, vcc_lo
	v_cmp_le_u32_e32 vcc_lo, s29, v13
	v_cndmask_b32_e64 v19, 0, -1, vcc_lo
	;; [unrolled: 2-line block ×4, first 2 shown]
	v_cmp_eq_u32_e32 vcc_lo, s29, v13
	v_cndmask_b32_e32 v13, v19, v18, vcc_lo
	v_cmp_eq_u32_e32 vcc_lo, s29, v23
	v_add_nc_u64_e32 v[18:19], 2, v[16:17]
	v_cndmask_b32_e32 v15, v26, v15, vcc_lo
	s_delay_alu instid0(VALU_DEP_4) | instskip(NEXT) | instid1(VALU_DEP_2)
	v_cmp_ne_u32_e32 vcc_lo, 0, v13
	v_cmp_ne_u32_e64 s2, 0, v15
	s_delay_alu instid0(VALU_DEP_4) | instskip(NEXT) | instid1(VALU_DEP_1)
	v_dual_cndmask_b32 v13, v25, v19, vcc_lo :: v_dual_cndmask_b32 v15, v24, v18, vcc_lo
	v_dual_cndmask_b32 v13, v17, v13, s2 :: v_dual_cndmask_b32 v16, v16, v15, s2
	s_delay_alu instid0(VALU_DEP_1) | instskip(NEXT) | instid1(VALU_DEP_2)
	v_dual_mov_b32 v15, v14 :: v_dual_bitop2_b32 v17, v13, v14 bitop3:0x14
	v_xor_b32_e32 v16, v16, v14
	s_delay_alu instid0(VALU_DEP_1)
	v_sub_nc_u64_e32 v[14:15], v[16:17], v[14:15]
                                        ; implicit-def: $vgpr16_vgpr17
.LBB4_29:                               ;   in Loop: Header=BB4_27 Depth=2
	s_and_not1_saveexec_b32 s2, s40
	s_cbranch_execz .LBB4_31
; %bb.30:                               ;   in Loop: Header=BB4_27 Depth=2
	v_cvt_f32_u32_e32 v13, s12
	s_sub_co_i32 s26, 0, s12
	s_delay_alu instid0(VALU_DEP_1) | instskip(SKIP_1) | instid1(TRANS32_DEP_1)
	v_rcp_iflag_f32_e32 v13, v13
	v_nop
	v_mul_f32_e32 v13, 0x4f7ffffe, v13
	s_delay_alu instid0(VALU_DEP_1) | instskip(NEXT) | instid1(VALU_DEP_1)
	v_cvt_u32_f32_e32 v13, v13
	v_mul_lo_u32 v14, s26, v13
	s_delay_alu instid0(VALU_DEP_1) | instskip(NEXT) | instid1(VALU_DEP_1)
	v_mul_hi_u32 v14, v13, v14
	v_add_nc_u32_e32 v13, v13, v14
	s_delay_alu instid0(VALU_DEP_1) | instskip(NEXT) | instid1(VALU_DEP_1)
	v_mul_hi_u32 v13, v16, v13
	v_mul_lo_u32 v14, v13, s12
	s_delay_alu instid0(VALU_DEP_1) | instskip(NEXT) | instid1(VALU_DEP_1)
	v_dual_add_nc_u32 v15, 1, v13 :: v_dual_sub_nc_u32 v14, v16, v14
	v_subrev_nc_u32_e32 v16, s12, v14
	v_cmp_le_u32_e32 vcc_lo, s12, v14
	s_delay_alu instid0(VALU_DEP_2) | instskip(NEXT) | instid1(VALU_DEP_1)
	v_dual_cndmask_b32 v14, v14, v16 :: v_dual_cndmask_b32 v13, v13, v15
	v_cmp_le_u32_e32 vcc_lo, s12, v14
	s_delay_alu instid0(VALU_DEP_2) | instskip(NEXT) | instid1(VALU_DEP_1)
	v_add_nc_u32_e32 v15, 1, v13
	v_cndmask_b32_e32 v14, v13, v15, vcc_lo
	v_mov_b32_e32 v15, v5
.LBB4_31:                               ;   in Loop: Header=BB4_27 Depth=2
	s_or_b32 exec_lo, exec_lo, s2
	v_dual_mov_b32 v18, v5 :: v_dual_add_nc_u32 v13, 1, v4
	s_delay_alu instid0(VALU_DEP_1) | instskip(NEXT) | instid1(VALU_DEP_1)
	v_mad_nc_u64_u32 v[16:17], v13, s6, -1
	v_mad_u32 v17, v13, s7, v17
	s_delay_alu instid0(VALU_DEP_1) | instskip(NEXT) | instid1(VALU_DEP_1)
	v_or_b32_e32 v19, s13, v17
	v_cmp_ne_u64_e32 vcc_lo, 0, v[18:19]
                                        ; implicit-def: $vgpr18_vgpr19
	s_and_saveexec_b32 s2, vcc_lo
	s_delay_alu instid0(SALU_CYCLE_1)
	s_xor_b32 s40, exec_lo, s2
	s_cbranch_execnz .LBB4_34
; %bb.32:                               ;   in Loop: Header=BB4_27 Depth=2
	s_and_not1_saveexec_b32 s2, s40
	s_cbranch_execnz .LBB4_35
.LBB4_33:                               ;   in Loop: Header=BB4_27 Depth=2
	s_or_b32 exec_lo, exec_lo, s2
	s_delay_alu instid0(SALU_CYCLE_1)
	s_and_not1_b32 vcc_lo, exec_lo, s33
	s_cbranch_vccz .LBB4_36
	s_branch .LBB4_26
.LBB4_34:                               ;   in Loop: Header=BB4_27 Depth=2
	s_ashr_i32 s26, s13, 31
	v_dual_mov_b32 v25, v5 :: v_dual_ashrrev_i32 v18, 31, v17
	s_mov_b32 s27, s26
	v_dual_mov_b32 v29, v5 :: v_dual_mov_b32 v33, v5
	s_add_nc_u64 s[28:29], s[12:13], s[26:27]
	s_delay_alu instid0(VALU_DEP_2) | instskip(SKIP_1) | instid1(SALU_CYCLE_1)
	v_mov_b32_e32 v19, v18
	s_xor_b64 s[28:29], s[28:29], s[26:27]
	s_cvt_f32_u32 s2, s28
	s_cvt_f32_u32 s27, s29
	s_sub_nc_u64 s[44:45], 0, s[28:29]
	v_add_nc_u64_e32 v[16:17], v[16:17], v[18:19]
	s_delay_alu instid0(SALU_CYCLE_1) | instskip(NEXT) | instid1(SALU_CYCLE_3)
	s_fmamk_f32 s2, s27, 0x4f800000, s2
	v_s_rcp_f32 s2, s2
	s_delay_alu instid0(VALU_DEP_1) | instskip(NEXT) | instid1(VALU_DEP_2)
	v_xor_b32_e32 v24, v16, v18
	v_xor_b32_e32 v28, v17, v18
	s_delay_alu instid0(TRANS32_DEP_1) | instskip(NEXT) | instid1(SALU_CYCLE_3)
	s_mul_f32 s2, s2, 0x5f7ffffc
	s_mul_f32 s27, s2, 0x2f800000
	s_delay_alu instid0(SALU_CYCLE_3) | instskip(NEXT) | instid1(SALU_CYCLE_3)
	s_trunc_f32 s27, s27
	s_fmamk_f32 s2, s27, 0xcf800000, s2
	s_cvt_u32_f32 s43, s27
	s_delay_alu instid0(SALU_CYCLE_2) | instskip(NEXT) | instid1(SALU_CYCLE_3)
	s_cvt_u32_f32 s42, s2
	s_mul_u64 s[46:47], s[44:45], s[42:43]
	s_delay_alu instid0(SALU_CYCLE_1)
	s_mul_hi_u32 s49, s42, s47
	s_mul_i32 s48, s42, s47
	s_mul_hi_u32 s2, s42, s46
	s_mul_i32 s41, s43, s46
	s_add_nc_u64 s[48:49], s[2:3], s[48:49]
	s_mul_hi_u32 s27, s43, s46
	s_mul_hi_u32 s50, s43, s47
	s_add_co_u32 s2, s48, s41
	s_add_co_ci_u32 s2, s49, s27
	s_mul_i32 s46, s43, s47
	s_add_co_ci_u32 s47, s50, 0
	s_delay_alu instid0(SALU_CYCLE_1) | instskip(NEXT) | instid1(SALU_CYCLE_1)
	s_add_nc_u64 s[46:47], s[2:3], s[46:47]
	s_add_co_u32 s42, s42, s46
	s_cselect_b32 s2, -1, 0
	s_delay_alu instid0(SALU_CYCLE_1) | instskip(SKIP_1) | instid1(SALU_CYCLE_1)
	s_cmp_lg_u32 s2, 0
	s_add_co_ci_u32 s43, s43, s47
	s_mul_u64 s[44:45], s[44:45], s[42:43]
	s_delay_alu instid0(SALU_CYCLE_1)
	s_mul_hi_u32 s47, s42, s45
	s_mul_i32 s46, s42, s45
	s_mul_hi_u32 s2, s42, s44
	s_mul_i32 s41, s43, s44
	s_add_nc_u64 s[46:47], s[2:3], s[46:47]
	s_mul_hi_u32 s27, s43, s44
	s_mul_hi_u32 s48, s43, s45
	s_add_co_u32 s2, s46, s41
	s_add_co_ci_u32 s2, s47, s27
	s_mul_i32 s44, s43, s45
	s_add_co_ci_u32 s45, s48, 0
	s_delay_alu instid0(SALU_CYCLE_1) | instskip(NEXT) | instid1(SALU_CYCLE_1)
	s_add_nc_u64 s[44:45], s[2:3], s[44:45]
	s_add_co_u32 s42, s42, s44
	s_cselect_b32 s2, -1, 0
	v_mul_hi_u32 v32, v24, s42
	s_cmp_lg_u32 s2, 0
	s_add_co_ci_u32 s2, s43, s45
	s_and_b64 s[44:45], s[42:43], s[20:21]
	v_mul_u64_e32 v[26:27], s[2:3], v[24:25]
	v_mul_u64_e32 v[16:17], s[44:45], v[28:29]
	;; [unrolled: 1-line block ×3, first 2 shown]
	s_delay_alu instid0(VALU_DEP_3) | instskip(NEXT) | instid1(VALU_DEP_1)
	v_add_nc_u64_e32 v[26:27], v[32:33], v[26:27]
	v_add_co_u32 v13, vcc_lo, v26, v16
	s_delay_alu instid0(VALU_DEP_2) | instskip(NEXT) | instid1(VALU_DEP_4)
	v_add_co_ci_u32_e32 v32, vcc_lo, v27, v17, vcc_lo
	v_add_co_ci_u32_e32 v31, vcc_lo, 0, v31, vcc_lo
	s_delay_alu instid0(VALU_DEP_1) | instskip(NEXT) | instid1(VALU_DEP_1)
	v_add_nc_u64_e32 v[16:17], v[32:33], v[30:31]
	v_mul_u64_e32 v[26:27], s[28:29], v[16:17]
	s_delay_alu instid0(VALU_DEP_1) | instskip(NEXT) | instid1(VALU_DEP_2)
	v_sub_nc_u32_e32 v13, v28, v27
	v_sub_co_u32 v19, vcc_lo, v24, v26
	s_delay_alu instid0(VALU_DEP_1) | instskip(NEXT) | instid1(VALU_DEP_3)
	v_sub_co_ci_u32_e64 v28, null, v28, v27, vcc_lo
	v_subrev_co_ci_u32_e64 v13, null, s29, v13, vcc_lo
	s_delay_alu instid0(VALU_DEP_3) | instskip(SKIP_1) | instid1(VALU_DEP_3)
	v_sub_co_u32 v23, s2, v19, s28
	v_add_nc_u64_e32 v[26:27], 1, v[16:17]
	v_subrev_co_ci_u32_e64 v13, null, 0, v13, s2
	s_delay_alu instid0(VALU_DEP_3) | instskip(SKIP_1) | instid1(VALU_DEP_3)
	v_cmp_le_u32_e32 vcc_lo, s28, v23
	v_cndmask_b32_e64 v23, 0, -1, vcc_lo
	v_cmp_le_u32_e32 vcc_lo, s29, v13
	v_cndmask_b32_e64 v24, 0, -1, vcc_lo
	;; [unrolled: 2-line block ×4, first 2 shown]
	v_cmp_eq_u32_e32 vcc_lo, s29, v13
	v_cndmask_b32_e32 v13, v24, v23, vcc_lo
	v_cmp_eq_u32_e32 vcc_lo, s29, v28
	v_add_nc_u64_e32 v[24:25], 2, v[16:17]
	v_cndmask_b32_e32 v19, v29, v19, vcc_lo
	s_delay_alu instid0(VALU_DEP_4) | instskip(NEXT) | instid1(VALU_DEP_3)
	v_cmp_ne_u32_e32 vcc_lo, 0, v13
	v_cndmask_b32_e32 v13, v27, v25, vcc_lo
	s_delay_alu instid0(VALU_DEP_3) | instskip(SKIP_1) | instid1(VALU_DEP_1)
	v_cmp_ne_u32_e64 s2, 0, v19
	v_dual_cndmask_b32 v19, v26, v24, vcc_lo :: v_dual_bitop2_b32 v18, s26, v18 bitop3:0x14
	v_dual_cndmask_b32 v13, v17, v13, s2 :: v_dual_cndmask_b32 v16, v16, v19, s2
	s_delay_alu instid0(VALU_DEP_1) | instskip(NEXT) | instid1(VALU_DEP_2)
	v_dual_mov_b32 v19, v18 :: v_dual_bitop2_b32 v17, v13, v18 bitop3:0x14
	v_xor_b32_e32 v16, v16, v18
	s_delay_alu instid0(VALU_DEP_1)
	v_sub_nc_u64_e32 v[18:19], v[16:17], v[18:19]
                                        ; implicit-def: $vgpr16_vgpr17
	s_and_not1_saveexec_b32 s2, s40
	s_cbranch_execz .LBB4_33
.LBB4_35:                               ;   in Loop: Header=BB4_27 Depth=2
	v_cvt_f32_u32_e32 v13, s12
	s_sub_co_i32 s26, 0, s12
	s_delay_alu instid0(VALU_DEP_1) | instskip(SKIP_1) | instid1(TRANS32_DEP_1)
	v_rcp_iflag_f32_e32 v13, v13
	v_nop
	v_mul_f32_e32 v13, 0x4f7ffffe, v13
	s_delay_alu instid0(VALU_DEP_1) | instskip(NEXT) | instid1(VALU_DEP_1)
	v_cvt_u32_f32_e32 v13, v13
	v_mul_lo_u32 v17, s26, v13
	s_delay_alu instid0(VALU_DEP_1) | instskip(NEXT) | instid1(VALU_DEP_1)
	v_mul_hi_u32 v17, v13, v17
	v_add_nc_u32_e32 v13, v13, v17
	s_delay_alu instid0(VALU_DEP_1) | instskip(NEXT) | instid1(VALU_DEP_1)
	v_mul_hi_u32 v13, v16, v13
	v_mul_lo_u32 v17, v13, s12
	s_delay_alu instid0(VALU_DEP_1) | instskip(SKIP_1) | instid1(VALU_DEP_2)
	v_sub_nc_u32_e32 v16, v16, v17
	v_add_nc_u32_e32 v17, 1, v13
	v_subrev_nc_u32_e32 v18, s12, v16
	v_cmp_le_u32_e32 vcc_lo, s12, v16
	s_delay_alu instid0(VALU_DEP_2) | instskip(NEXT) | instid1(VALU_DEP_1)
	v_dual_cndmask_b32 v16, v16, v18 :: v_dual_cndmask_b32 v13, v13, v17
	v_cmp_le_u32_e32 vcc_lo, s12, v16
	s_delay_alu instid0(VALU_DEP_2) | instskip(NEXT) | instid1(VALU_DEP_1)
	v_add_nc_u32_e32 v17, 1, v13
	v_cndmask_b32_e32 v18, v13, v17, vcc_lo
	s_or_b32 exec_lo, exec_lo, s2
	s_delay_alu instid0(SALU_CYCLE_1)
	s_and_not1_b32 vcc_lo, exec_lo, s33
	s_cbranch_vccnz .LBB4_26
.LBB4_36:                               ;   in Loop: Header=BB4_27 Depth=2
	v_lshl_add_u64 v[16:17], v[4:5], 3, v[8:9]
	v_mad_nc_i64_i32 v[14:15], v12, s6, v[14:15]
	s_mov_b32 s28, 0
	global_load_b64 v[16:17], v[16:17], off
	v_sub_nc_u32_e32 v12, v18, v14
	s_delay_alu instid0(VALU_DEP_1) | instskip(NEXT) | instid1(VALU_DEP_1)
	v_add_nc_u32_e32 v18, 1, v12
	v_cvt_f64_i32_e32 v[12:13], v18
	s_wait_loadcnt 0x0
	v_div_scale_f64 v[24:25], null, v[0:1], v[0:1], v[16:17]
	v_div_scale_f64 v[30:31], vcc_lo, v[16:17], v[0:1], v[16:17]
	s_delay_alu instid0(VALU_DEP_2) | instskip(SKIP_1) | instid1(TRANS32_DEP_1)
	v_rcp_f64_e32 v[26:27], v[24:25]
	v_nop
	v_fma_f64 v[28:29], -v[24:25], v[26:27], 1.0
	s_delay_alu instid0(VALU_DEP_1) | instskip(NEXT) | instid1(VALU_DEP_1)
	v_fmac_f64_e32 v[26:27], v[26:27], v[28:29]
	v_fma_f64 v[28:29], -v[24:25], v[26:27], 1.0
	s_delay_alu instid0(VALU_DEP_1) | instskip(NEXT) | instid1(VALU_DEP_1)
	v_fmac_f64_e32 v[26:27], v[26:27], v[28:29]
	v_mul_f64_e32 v[28:29], v[30:31], v[26:27]
	s_delay_alu instid0(VALU_DEP_1) | instskip(NEXT) | instid1(VALU_DEP_1)
	v_fma_f64 v[24:25], -v[24:25], v[28:29], v[30:31]
	v_div_fmas_f64 v[24:25], v[24:25], v[26:27], v[28:29]
	s_wait_xcnt 0x0
	s_delay_alu instid0(VALU_DEP_1) | instskip(NEXT) | instid1(VALU_DEP_1)
	v_div_fixup_f64 v[16:17], v[24:25], v[0:1], v[16:17]
	v_div_scale_f64 v[24:25], null, v[6:7], v[6:7], v[16:17]
	v_div_scale_f64 v[30:31], vcc_lo, v[16:17], v[6:7], v[16:17]
	s_delay_alu instid0(VALU_DEP_2) | instskip(SKIP_1) | instid1(TRANS32_DEP_1)
	v_rcp_f64_e32 v[26:27], v[24:25]
	v_nop
	v_fma_f64 v[28:29], -v[24:25], v[26:27], 1.0
	s_delay_alu instid0(VALU_DEP_1) | instskip(NEXT) | instid1(VALU_DEP_1)
	v_fmac_f64_e32 v[26:27], v[26:27], v[28:29]
	v_fma_f64 v[28:29], -v[24:25], v[26:27], 1.0
	s_delay_alu instid0(VALU_DEP_1) | instskip(NEXT) | instid1(VALU_DEP_1)
	v_fmac_f64_e32 v[26:27], v[26:27], v[28:29]
	v_mul_f64_e32 v[28:29], v[30:31], v[26:27]
	s_delay_alu instid0(VALU_DEP_1) | instskip(NEXT) | instid1(VALU_DEP_1)
	v_fma_f64 v[24:25], -v[24:25], v[28:29], v[30:31]
	v_div_fmas_f64 v[24:25], v[24:25], v[26:27], v[28:29]
	s_delay_alu instid0(VALU_DEP_1) | instskip(NEXT) | instid1(VALU_DEP_1)
	v_div_fixup_f64 v[16:17], v[24:25], v[6:7], v[16:17]
	v_div_scale_f64 v[24:25], null, v[12:13], v[12:13], v[16:17]
	s_delay_alu instid0(VALU_DEP_1) | instskip(SKIP_1) | instid1(TRANS32_DEP_1)
	v_rcp_f64_e32 v[26:27], v[24:25]
	v_nop
	v_fma_f64 v[28:29], -v[24:25], v[26:27], 1.0
	s_delay_alu instid0(VALU_DEP_1) | instskip(NEXT) | instid1(VALU_DEP_1)
	v_fmac_f64_e32 v[26:27], v[26:27], v[28:29]
	v_fma_f64 v[28:29], -v[24:25], v[26:27], 1.0
	s_delay_alu instid0(VALU_DEP_1) | instskip(SKIP_1) | instid1(VALU_DEP_1)
	v_fmac_f64_e32 v[26:27], v[26:27], v[28:29]
	v_div_scale_f64 v[28:29], vcc_lo, v[16:17], v[12:13], v[16:17]
	v_mul_f64_e32 v[30:31], v[28:29], v[26:27]
	s_delay_alu instid0(VALU_DEP_1) | instskip(NEXT) | instid1(VALU_DEP_1)
	v_fma_f64 v[24:25], -v[24:25], v[30:31], v[28:29]
	v_div_fmas_f64 v[24:25], v[24:25], v[26:27], v[30:31]
	v_cmp_lt_i32_e32 vcc_lo, 0, v18
	s_delay_alu instid0(VALU_DEP_2) | instskip(SKIP_1) | instid1(VALU_DEP_1)
	v_div_fixup_f64 v[12:13], v[24:25], v[12:13], v[16:17]
	v_dual_mov_b32 v16, v5 :: v_dual_mov_b32 v17, v14
	v_ashrrev_i64 v[14:15], 29, v[16:17]
	s_delay_alu instid0(VALU_DEP_1)
	v_add_nc_u64_e32 v[14:15], v[10:11], v[14:15]
	s_branch .LBB4_38
.LBB4_37:                               ;   in Loop: Header=BB4_38 Depth=3
	s_or_b32 exec_lo, exec_lo, s29
	s_delay_alu instid0(VALU_DEP_1) | instskip(SKIP_1) | instid1(SALU_CYCLE_1)
	v_add_nc_u64_e32 v[14:15], s[22:23], v[14:15]
	s_add_co_i32 s28, s28, 1
	s_cmp_lt_i32 s28, s30
	s_cbranch_scc0 .LBB4_26
.LBB4_38:                               ;   Parent Loop BB4_12 Depth=1
                                        ;     Parent Loop BB4_27 Depth=2
                                        ; =>    This Loop Header: Depth=3
                                        ;         Child Loop BB4_41 Depth 4
                                        ;           Child Loop BB4_43 Depth 5
	s_and_saveexec_b32 s29, s1
	s_cbranch_execz .LBB4_37
; %bb.39:                               ;   in Loop: Header=BB4_38 Depth=3
	s_mov_b32 s40, 0
	s_mov_b32 s26, 0
	;; [unrolled: 1-line block ×3, first 2 shown]
	s_branch .LBB4_41
.LBB4_40:                               ;   in Loop: Header=BB4_41 Depth=4
	s_or_b32 exec_lo, exec_lo, s42
	s_add_co_i32 s41, s41, 1
	s_add_co_i32 s26, s26, s6
	v_cmp_ge_i32_e64 s2, s41, v3
	s_or_b32 s40, s2, s40
	s_delay_alu instid0(SALU_CYCLE_1)
	s_and_not1_b32 exec_lo, exec_lo, s40
	s_cbranch_execz .LBB4_37
.LBB4_41:                               ;   Parent Loop BB4_12 Depth=1
                                        ;     Parent Loop BB4_27 Depth=2
                                        ;       Parent Loop BB4_38 Depth=3
                                        ; =>      This Loop Header: Depth=4
                                        ;           Child Loop BB4_43 Depth 5
	s_and_saveexec_b32 s42, vcc_lo
	s_cbranch_execz .LBB4_40
; %bb.42:                               ;   in Loop: Header=BB4_41 Depth=4
	s_ashr_i32 s27, s26, 31
	s_mov_b32 s43, 0
	v_lshl_add_u64 v[16:17], s[26:27], 3, v[14:15]
	s_mov_b32 s27, 0
.LBB4_43:                               ;   Parent Loop BB4_12 Depth=1
                                        ;     Parent Loop BB4_27 Depth=2
                                        ;       Parent Loop BB4_38 Depth=3
                                        ;         Parent Loop BB4_41 Depth=4
                                        ; =>        This Inner Loop Header: Depth=5
	global_atomic_add_f64 v[16:17], v[12:13], off scope:SCOPE_DEV
	s_add_co_i32 s43, s43, 1
	s_wait_xcnt 0x0
	v_add_nc_u64_e32 v[16:17], 8, v[16:17]
	v_cmp_ge_i32_e64 s2, s43, v18
	s_or_b32 s27, s2, s27
	s_delay_alu instid0(SALU_CYCLE_1)
	s_and_not1_b32 exec_lo, exec_lo, s27
	s_cbranch_execnz .LBB4_43
	s_branch .LBB4_40
.LBB4_44:
	s_endpgm
.LBB4_45:
                                        ; implicit-def: $sgpr16_sgpr17
	s_branch .LBB4_2
.LBB4_46:
                                        ; implicit-def: $sgpr12_sgpr13
	s_branch .LBB4_5
.LBB4_47:
                                        ; implicit-def: $sgpr20_sgpr21
	s_load_b32 s17, s[0:1], 0x3c
	s_branch .LBB4_8
	.section	.rodata,"a",@progbits
	.p2align	6, 0x0
	.amdhsa_kernel _ZN2at6native12_GLOBAL__N_130atomicadaptiveaveragegradinputIdEEvPT_PKS3_iiiiiil
		.amdhsa_group_segment_fixed_size 0
		.amdhsa_private_segment_fixed_size 0
		.amdhsa_kernarg_size 304
		.amdhsa_user_sgpr_count 2
		.amdhsa_user_sgpr_dispatch_ptr 0
		.amdhsa_user_sgpr_queue_ptr 0
		.amdhsa_user_sgpr_kernarg_segment_ptr 1
		.amdhsa_user_sgpr_dispatch_id 0
		.amdhsa_user_sgpr_kernarg_preload_length 0
		.amdhsa_user_sgpr_kernarg_preload_offset 0
		.amdhsa_user_sgpr_private_segment_size 0
		.amdhsa_wavefront_size32 1
		.amdhsa_uses_dynamic_stack 0
		.amdhsa_enable_private_segment 0
		.amdhsa_system_sgpr_workgroup_id_x 1
		.amdhsa_system_sgpr_workgroup_id_y 1
		.amdhsa_system_sgpr_workgroup_id_z 0
		.amdhsa_system_sgpr_workgroup_info 0
		.amdhsa_system_vgpr_workitem_id 1
		.amdhsa_next_free_vgpr 34
		.amdhsa_next_free_sgpr 51
		.amdhsa_named_barrier_count 0
		.amdhsa_reserve_vcc 1
		.amdhsa_float_round_mode_32 0
		.amdhsa_float_round_mode_16_64 0
		.amdhsa_float_denorm_mode_32 3
		.amdhsa_float_denorm_mode_16_64 3
		.amdhsa_fp16_overflow 0
		.amdhsa_memory_ordered 1
		.amdhsa_forward_progress 1
		.amdhsa_inst_pref_size 53
		.amdhsa_round_robin_scheduling 0
		.amdhsa_exception_fp_ieee_invalid_op 0
		.amdhsa_exception_fp_denorm_src 0
		.amdhsa_exception_fp_ieee_div_zero 0
		.amdhsa_exception_fp_ieee_overflow 0
		.amdhsa_exception_fp_ieee_underflow 0
		.amdhsa_exception_fp_ieee_inexact 0
		.amdhsa_exception_int_div_zero 0
	.end_amdhsa_kernel
	.section	.text._ZN2at6native12_GLOBAL__N_130atomicadaptiveaveragegradinputIdEEvPT_PKS3_iiiiiil,"axG",@progbits,_ZN2at6native12_GLOBAL__N_130atomicadaptiveaveragegradinputIdEEvPT_PKS3_iiiiiil,comdat
.Lfunc_end4:
	.size	_ZN2at6native12_GLOBAL__N_130atomicadaptiveaveragegradinputIdEEvPT_PKS3_iiiiiil, .Lfunc_end4-_ZN2at6native12_GLOBAL__N_130atomicadaptiveaveragegradinputIdEEvPT_PKS3_iiiiiil
                                        ; -- End function
	.set _ZN2at6native12_GLOBAL__N_130atomicadaptiveaveragegradinputIdEEvPT_PKS3_iiiiiil.num_vgpr, 34
	.set _ZN2at6native12_GLOBAL__N_130atomicadaptiveaveragegradinputIdEEvPT_PKS3_iiiiiil.num_agpr, 0
	.set _ZN2at6native12_GLOBAL__N_130atomicadaptiveaveragegradinputIdEEvPT_PKS3_iiiiiil.numbered_sgpr, 51
	.set _ZN2at6native12_GLOBAL__N_130atomicadaptiveaveragegradinputIdEEvPT_PKS3_iiiiiil.num_named_barrier, 0
	.set _ZN2at6native12_GLOBAL__N_130atomicadaptiveaveragegradinputIdEEvPT_PKS3_iiiiiil.private_seg_size, 0
	.set _ZN2at6native12_GLOBAL__N_130atomicadaptiveaveragegradinputIdEEvPT_PKS3_iiiiiil.uses_vcc, 1
	.set _ZN2at6native12_GLOBAL__N_130atomicadaptiveaveragegradinputIdEEvPT_PKS3_iiiiiil.uses_flat_scratch, 0
	.set _ZN2at6native12_GLOBAL__N_130atomicadaptiveaveragegradinputIdEEvPT_PKS3_iiiiiil.has_dyn_sized_stack, 0
	.set _ZN2at6native12_GLOBAL__N_130atomicadaptiveaveragegradinputIdEEvPT_PKS3_iiiiiil.has_recursion, 0
	.set _ZN2at6native12_GLOBAL__N_130atomicadaptiveaveragegradinputIdEEvPT_PKS3_iiiiiil.has_indirect_call, 0
	.section	.AMDGPU.csdata,"",@progbits
; Kernel info:
; codeLenInByte = 6708
; TotalNumSgprs: 53
; NumVgprs: 34
; ScratchSize: 0
; MemoryBound: 0
; FloatMode: 240
; IeeeMode: 1
; LDSByteSize: 0 bytes/workgroup (compile time only)
; SGPRBlocks: 0
; VGPRBlocks: 2
; NumSGPRsForWavesPerEU: 53
; NumVGPRsForWavesPerEU: 34
; NamedBarCnt: 0
; Occupancy: 16
; WaveLimiterHint : 0
; COMPUTE_PGM_RSRC2:SCRATCH_EN: 0
; COMPUTE_PGM_RSRC2:USER_SGPR: 2
; COMPUTE_PGM_RSRC2:TRAP_HANDLER: 0
; COMPUTE_PGM_RSRC2:TGID_X_EN: 1
; COMPUTE_PGM_RSRC2:TGID_Y_EN: 1
; COMPUTE_PGM_RSRC2:TGID_Z_EN: 0
; COMPUTE_PGM_RSRC2:TIDIG_COMP_CNT: 1
	.section	.text._ZN2at6native12_GLOBAL__N_130atomicadaptiveaveragegradinputIfEEvPT_PKS3_iiiiiil,"axG",@progbits,_ZN2at6native12_GLOBAL__N_130atomicadaptiveaveragegradinputIfEEvPT_PKS3_iiiiiil,comdat
	.globl	_ZN2at6native12_GLOBAL__N_130atomicadaptiveaveragegradinputIfEEvPT_PKS3_iiiiiil ; -- Begin function _ZN2at6native12_GLOBAL__N_130atomicadaptiveaveragegradinputIfEEvPT_PKS3_iiiiiil
	.p2align	8
	.type	_ZN2at6native12_GLOBAL__N_130atomicadaptiveaveragegradinputIfEEvPT_PKS3_iiiiiil,@function
_ZN2at6native12_GLOBAL__N_130atomicadaptiveaveragegradinputIfEEvPT_PKS3_iiiiiil: ; @_ZN2at6native12_GLOBAL__N_130atomicadaptiveaveragegradinputIfEEvPT_PKS3_iiiiiil
; %bb.0:
	s_load_b256 s[4:11], s[0:1], 0x10
	s_bfe_u32 s2, ttmp6, 0x4000c
	s_and_b32 s3, ttmp6, 15
	s_add_co_i32 s2, s2, 1
	s_getreg_b32 s26, hwreg(HW_REG_IB_STS2, 6, 4)
	s_mul_i32 s2, ttmp9, s2
	s_mov_b32 s13, 0
	s_add_co_i32 s3, s3, s2
	s_cmp_eq_u32 s26, 0
	s_cselect_b32 s12, ttmp9, s3
	s_wait_kmcnt 0x0
	s_add_nc_u64 s[14:15], s[10:11], s[12:13]
	s_ashr_i32 s3, s7, 31
	s_mov_b32 s2, s7
	s_delay_alu instid0(SALU_CYCLE_1) | instskip(NEXT) | instid1(SALU_CYCLE_1)
	s_or_b64 s[10:11], s[14:15], s[2:3]
	s_and_b64 s[10:11], s[10:11], 0xffffffff00000000
	s_delay_alu instid0(SALU_CYCLE_1)
	s_cmp_lg_u64 s[10:11], 0
	s_cbranch_scc0 .LBB5_45
; %bb.1:
	s_ashr_i32 s10, s3, 31
	s_delay_alu instid0(SALU_CYCLE_1) | instskip(NEXT) | instid1(SALU_CYCLE_1)
	s_mov_b32 s11, s10
	s_add_nc_u64 s[16:17], s[2:3], s[10:11]
	s_delay_alu instid0(SALU_CYCLE_1) | instskip(NEXT) | instid1(SALU_CYCLE_1)
	s_xor_b64 s[16:17], s[16:17], s[10:11]
	s_cvt_f32_u32 s7, s16
	s_cvt_f32_u32 s12, s17
	s_sub_nc_u64 s[20:21], 0, s[16:17]
	s_delay_alu instid0(SALU_CYCLE_2) | instskip(NEXT) | instid1(SALU_CYCLE_3)
	s_fmamk_f32 s7, s12, 0x4f800000, s7
	v_s_rcp_f32 s7, s7
	s_delay_alu instid0(TRANS32_DEP_1) | instskip(NEXT) | instid1(SALU_CYCLE_3)
	s_mul_f32 s7, s7, 0x5f7ffffc
	s_mul_f32 s12, s7, 0x2f800000
	s_delay_alu instid0(SALU_CYCLE_3) | instskip(NEXT) | instid1(SALU_CYCLE_3)
	s_trunc_f32 s12, s12
	s_fmamk_f32 s7, s12, 0xcf800000, s7
	s_cvt_u32_f32 s19, s12
	s_delay_alu instid0(SALU_CYCLE_2) | instskip(NEXT) | instid1(SALU_CYCLE_3)
	s_cvt_u32_f32 s18, s7
	s_mul_u64 s[22:23], s[20:21], s[18:19]
	s_delay_alu instid0(SALU_CYCLE_1)
	s_mul_hi_u32 s25, s18, s23
	s_mul_i32 s24, s18, s23
	s_mul_hi_u32 s12, s18, s22
	s_mul_i32 s27, s19, s22
	s_add_nc_u64 s[24:25], s[12:13], s[24:25]
	s_mul_hi_u32 s7, s19, s22
	s_mul_hi_u32 s28, s19, s23
	s_add_co_u32 s12, s24, s27
	s_add_co_ci_u32 s12, s25, s7
	s_mul_i32 s22, s19, s23
	s_add_co_ci_u32 s23, s28, 0
	s_delay_alu instid0(SALU_CYCLE_1) | instskip(NEXT) | instid1(SALU_CYCLE_1)
	s_add_nc_u64 s[22:23], s[12:13], s[22:23]
	s_add_co_u32 s18, s18, s22
	s_cselect_b32 s7, -1, 0
	s_delay_alu instid0(SALU_CYCLE_1) | instskip(SKIP_1) | instid1(SALU_CYCLE_1)
	s_cmp_lg_u32 s7, 0
	s_add_co_ci_u32 s19, s19, s23
	s_mul_u64 s[20:21], s[20:21], s[18:19]
	s_delay_alu instid0(SALU_CYCLE_1)
	s_mul_hi_u32 s23, s18, s21
	s_mul_i32 s22, s18, s21
	s_mul_hi_u32 s12, s18, s20
	s_mul_i32 s24, s19, s20
	s_add_nc_u64 s[22:23], s[12:13], s[22:23]
	s_mul_hi_u32 s7, s19, s20
	s_mul_hi_u32 s25, s19, s21
	s_add_co_u32 s12, s22, s24
	s_add_co_ci_u32 s12, s23, s7
	s_mul_i32 s20, s19, s21
	s_add_co_ci_u32 s21, s25, 0
	s_delay_alu instid0(SALU_CYCLE_1) | instskip(NEXT) | instid1(SALU_CYCLE_1)
	s_add_nc_u64 s[20:21], s[12:13], s[20:21]
	s_add_co_u32 s7, s18, s20
	s_cselect_b32 s12, -1, 0
	s_delay_alu instid0(SALU_CYCLE_1) | instskip(SKIP_2) | instid1(SALU_CYCLE_1)
	s_cmp_lg_u32 s12, 0
	s_add_co_ci_u32 s24, s19, s21
	s_ashr_i32 s18, s15, 31
	s_mov_b32 s19, s18
	s_delay_alu instid0(SALU_CYCLE_1) | instskip(NEXT) | instid1(SALU_CYCLE_1)
	s_add_nc_u64 s[20:21], s[14:15], s[18:19]
	s_xor_b64 s[20:21], s[20:21], s[18:19]
	s_delay_alu instid0(SALU_CYCLE_1)
	s_mul_hi_u32 s23, s20, s24
	s_mul_i32 s22, s20, s24
	s_mul_hi_u32 s12, s20, s7
	s_mul_hi_u32 s27, s21, s7
	s_mul_i32 s7, s21, s7
	s_add_nc_u64 s[22:23], s[12:13], s[22:23]
	s_mul_hi_u32 s25, s21, s24
	s_add_co_u32 s7, s22, s7
	s_add_co_ci_u32 s12, s23, s27
	s_mul_i32 s24, s21, s24
	s_add_co_ci_u32 s25, s25, 0
	s_delay_alu instid0(SALU_CYCLE_1) | instskip(NEXT) | instid1(SALU_CYCLE_1)
	s_add_nc_u64 s[22:23], s[12:13], s[24:25]
	s_and_b64 s[24:25], s[22:23], 0xffffffff00000000
	s_delay_alu instid0(SALU_CYCLE_1) | instskip(NEXT) | instid1(SALU_CYCLE_1)
	s_or_b32 s24, s24, s22
	s_mul_u64 s[22:23], s[16:17], s[24:25]
	s_add_nc_u64 s[28:29], s[24:25], 1
	s_sub_co_u32 s7, s20, s22
	s_cselect_b32 s12, -1, 0
	s_sub_co_i32 s20, s21, s23
	s_cmp_lg_u32 s12, 0
	s_add_nc_u64 s[30:31], s[24:25], 2
	s_sub_co_ci_u32 s20, s20, s17
	s_sub_co_u32 s22, s7, s16
	s_cselect_b32 s27, -1, 0
	s_delay_alu instid0(SALU_CYCLE_1) | instskip(SKIP_1) | instid1(SALU_CYCLE_1)
	s_cmp_lg_u32 s27, 0
	s_sub_co_ci_u32 s20, s20, 0
	s_cmp_ge_u32 s20, s17
	s_cselect_b32 s27, -1, 0
	s_cmp_ge_u32 s22, s16
	s_cselect_b32 s22, -1, 0
	s_cmp_eq_u32 s20, s17
	s_cselect_b32 s20, s22, s27
	s_delay_alu instid0(SALU_CYCLE_1) | instskip(SKIP_4) | instid1(SALU_CYCLE_1)
	s_cmp_lg_u32 s20, 0
	s_cselect_b32 s20, s30, s28
	s_cselect_b32 s22, s31, s29
	s_cmp_lg_u32 s12, 0
	s_sub_co_ci_u32 s12, s21, s23
	s_cmp_ge_u32 s12, s17
	s_cselect_b32 s21, -1, 0
	s_cmp_ge_u32 s7, s16
	s_cselect_b32 s7, -1, 0
	s_cmp_eq_u32 s12, s17
	s_cselect_b32 s7, s7, s21
	s_delay_alu instid0(SALU_CYCLE_1) | instskip(SKIP_3) | instid1(SALU_CYCLE_1)
	s_cmp_lg_u32 s7, 0
	s_cselect_b32 s17, s22, s25
	s_cselect_b32 s16, s20, s24
	s_xor_b64 s[10:11], s[18:19], s[10:11]
	s_xor_b64 s[16:17], s[16:17], s[10:11]
	s_delay_alu instid0(SALU_CYCLE_1)
	s_sub_nc_u64 s[16:17], s[16:17], s[10:11]
	s_and_not1_b32 vcc_lo, exec_lo, s13
	s_cbranch_vccnz .LBB5_3
.LBB5_2:
	v_cvt_f32_u32_e32 v1, s2
	s_sub_co_i32 s10, 0, s2
	s_mov_b32 s17, 0
	s_delay_alu instid0(VALU_DEP_1) | instskip(SKIP_1) | instid1(TRANS32_DEP_1)
	v_rcp_iflag_f32_e32 v1, v1
	v_nop
	v_mul_f32_e32 v1, 0x4f7ffffe, v1
	s_delay_alu instid0(VALU_DEP_1) | instskip(NEXT) | instid1(VALU_DEP_1)
	v_cvt_u32_f32_e32 v1, v1
	v_readfirstlane_b32 s7, v1
	s_mul_i32 s10, s10, s7
	s_delay_alu instid0(SALU_CYCLE_1) | instskip(NEXT) | instid1(SALU_CYCLE_1)
	s_mul_hi_u32 s10, s7, s10
	s_add_co_i32 s7, s7, s10
	s_delay_alu instid0(SALU_CYCLE_1) | instskip(NEXT) | instid1(SALU_CYCLE_1)
	s_mul_hi_u32 s7, s14, s7
	s_mul_i32 s10, s7, s2
	s_add_co_i32 s11, s7, 1
	s_sub_co_i32 s10, s14, s10
	s_delay_alu instid0(SALU_CYCLE_1)
	s_sub_co_i32 s12, s10, s2
	s_cmp_ge_u32 s10, s2
	s_cselect_b32 s7, s11, s7
	s_cselect_b32 s10, s12, s10
	s_add_co_i32 s11, s7, 1
	s_cmp_ge_u32 s10, s2
	s_cselect_b32 s16, s11, s7
.LBB5_3:
	s_abs_i32 s7, s2
	s_mov_b32 s23, 0
	s_cvt_f32_u32 s10, s7
	s_sub_co_i32 s13, 0, s7
	s_delay_alu instid0(SALU_CYCLE_2) | instskip(SKIP_1) | instid1(TRANS32_DEP_1)
	v_rcp_iflag_f32_e32 v1, s10
	v_nop
	v_readfirstlane_b32 s10, v1
	s_mul_f32 s10, s10, 0x4f7ffffe
	s_delay_alu instid0(SALU_CYCLE_3) | instskip(SKIP_1) | instid1(SALU_CYCLE_1)
	s_cvt_u32_f32 s12, s10
	s_mul_u64 s[10:11], s[16:17], s[2:3]
	s_sub_nc_u64 s[18:19], s[14:15], s[10:11]
	s_delay_alu instid0(SALU_CYCLE_1) | instskip(SKIP_4) | instid1(SALU_CYCLE_1)
	s_mul_i32 s13, s13, s12
	s_ashr_i32 s11, s4, 31
	s_mul_hi_u32 s10, s12, s13
	s_abs_i32 s13, s18
	s_add_co_i32 s12, s12, s10
	s_mul_hi_u32 s10, s13, s12
	s_xor_b32 s12, s18, s2
	s_mul_i32 s17, s10, s7
	s_ashr_i32 s12, s12, 31
	s_sub_co_i32 s13, s13, s17
	s_add_co_i32 s17, s10, 1
	s_sub_co_i32 s20, s13, s7
	s_cmp_ge_u32 s13, s7
	s_cselect_b32 s10, s17, s10
	s_cselect_b32 s13, s20, s13
	s_add_co_i32 s17, s10, 1
	s_cmp_ge_u32 s13, s7
	s_cselect_b32 s7, s17, s10
	s_delay_alu instid0(SALU_CYCLE_1) | instskip(NEXT) | instid1(SALU_CYCLE_1)
	s_xor_b32 s7, s7, s12
	s_sub_co_i32 s7, s7, s12
	s_delay_alu instid0(SALU_CYCLE_1) | instskip(NEXT) | instid1(SALU_CYCLE_1)
	s_mul_i32 s10, s7, s2
	s_sub_co_i32 s12, s18, s10
	s_mov_b32 s10, s4
	s_ashr_i32 s13, s12, 31
	s_delay_alu instid0(SALU_CYCLE_1) | instskip(NEXT) | instid1(SALU_CYCLE_1)
	s_mul_u64 s[20:21], s[12:13], s[10:11]
	s_or_b64 s[12:13], s[20:21], s[2:3]
	s_delay_alu instid0(SALU_CYCLE_1) | instskip(NEXT) | instid1(SALU_CYCLE_1)
	s_and_b64 s[12:13], s[12:13], 0xffffffff00000000
	s_cmp_lg_u64 s[12:13], 0
	s_cbranch_scc0 .LBB5_46
; %bb.4:
	s_ashr_i32 s12, s3, 31
	s_delay_alu instid0(SALU_CYCLE_1) | instskip(NEXT) | instid1(SALU_CYCLE_1)
	s_mov_b32 s13, s12
	s_add_nc_u64 s[24:25], s[2:3], s[12:13]
	s_delay_alu instid0(SALU_CYCLE_1) | instskip(NEXT) | instid1(SALU_CYCLE_1)
	s_xor_b64 s[24:25], s[24:25], s[12:13]
	s_cvt_f32_u32 s17, s24
	s_cvt_f32_u32 s22, s25
	s_sub_nc_u64 s[30:31], 0, s[24:25]
	s_delay_alu instid0(SALU_CYCLE_2) | instskip(NEXT) | instid1(SALU_CYCLE_3)
	s_fmamk_f32 s17, s22, 0x4f800000, s17
	v_s_rcp_f32 s17, s17
	s_delay_alu instid0(TRANS32_DEP_1) | instskip(NEXT) | instid1(SALU_CYCLE_3)
	s_mul_f32 s17, s17, 0x5f7ffffc
	s_mul_f32 s22, s17, 0x2f800000
	s_delay_alu instid0(SALU_CYCLE_3) | instskip(NEXT) | instid1(SALU_CYCLE_3)
	s_trunc_f32 s22, s22
	s_fmamk_f32 s17, s22, 0xcf800000, s17
	s_cvt_u32_f32 s29, s22
	s_delay_alu instid0(SALU_CYCLE_2) | instskip(NEXT) | instid1(SALU_CYCLE_3)
	s_cvt_u32_f32 s28, s17
	s_mul_u64 s[34:35], s[30:31], s[28:29]
	s_delay_alu instid0(SALU_CYCLE_1)
	s_mul_hi_u32 s37, s28, s35
	s_mul_i32 s36, s28, s35
	s_mul_hi_u32 s22, s28, s34
	s_mul_i32 s27, s29, s34
	s_add_nc_u64 s[36:37], s[22:23], s[36:37]
	s_mul_hi_u32 s17, s29, s34
	s_mul_hi_u32 s33, s29, s35
	s_add_co_u32 s22, s36, s27
	s_add_co_ci_u32 s22, s37, s17
	s_mul_i32 s34, s29, s35
	s_add_co_ci_u32 s35, s33, 0
	s_delay_alu instid0(SALU_CYCLE_1) | instskip(NEXT) | instid1(SALU_CYCLE_1)
	s_add_nc_u64 s[34:35], s[22:23], s[34:35]
	s_add_co_u32 s28, s28, s34
	s_cselect_b32 s17, -1, 0
	s_delay_alu instid0(SALU_CYCLE_1) | instskip(SKIP_1) | instid1(SALU_CYCLE_1)
	s_cmp_lg_u32 s17, 0
	s_add_co_ci_u32 s29, s29, s35
	s_mul_u64 s[30:31], s[30:31], s[28:29]
	s_delay_alu instid0(SALU_CYCLE_1)
	s_mul_hi_u32 s35, s28, s31
	s_mul_i32 s34, s28, s31
	s_mul_hi_u32 s22, s28, s30
	s_mul_i32 s27, s29, s30
	s_add_nc_u64 s[34:35], s[22:23], s[34:35]
	s_mul_hi_u32 s17, s29, s30
	s_mul_hi_u32 s33, s29, s31
	s_add_co_u32 s22, s34, s27
	s_add_co_ci_u32 s22, s35, s17
	s_mul_i32 s30, s29, s31
	s_add_co_ci_u32 s31, s33, 0
	s_delay_alu instid0(SALU_CYCLE_1) | instskip(NEXT) | instid1(SALU_CYCLE_1)
	s_add_nc_u64 s[30:31], s[22:23], s[30:31]
	s_add_co_u32 s17, s28, s30
	s_cselect_b32 s22, -1, 0
	s_delay_alu instid0(SALU_CYCLE_1) | instskip(SKIP_2) | instid1(SALU_CYCLE_1)
	s_cmp_lg_u32 s22, 0
	s_add_co_ci_u32 s27, s29, s31
	s_ashr_i32 s28, s21, 31
	s_mov_b32 s29, s28
	s_delay_alu instid0(SALU_CYCLE_1) | instskip(NEXT) | instid1(SALU_CYCLE_1)
	s_add_nc_u64 s[30:31], s[20:21], s[28:29]
	s_xor_b64 s[30:31], s[30:31], s[28:29]
	s_delay_alu instid0(SALU_CYCLE_1)
	s_mul_hi_u32 s35, s30, s27
	s_mul_i32 s34, s30, s27
	s_mul_hi_u32 s22, s30, s17
	s_mul_hi_u32 s33, s31, s17
	s_mul_i32 s17, s31, s17
	s_add_nc_u64 s[34:35], s[22:23], s[34:35]
	s_mul_hi_u32 s21, s31, s27
	s_add_co_u32 s17, s34, s17
	s_add_co_ci_u32 s22, s35, s33
	s_mul_i32 s36, s31, s27
	s_add_co_ci_u32 s37, s21, 0
	s_delay_alu instid0(SALU_CYCLE_1) | instskip(NEXT) | instid1(SALU_CYCLE_1)
	s_add_nc_u64 s[34:35], s[22:23], s[36:37]
	s_and_b64 s[36:37], s[34:35], 0xffffffff00000000
	s_delay_alu instid0(SALU_CYCLE_1) | instskip(NEXT) | instid1(SALU_CYCLE_1)
	s_or_b32 s36, s36, s34
	s_mul_u64 s[34:35], s[24:25], s[36:37]
	s_add_nc_u64 s[38:39], s[36:37], 1
	s_sub_co_u32 s17, s30, s34
	s_cselect_b32 s21, -1, 0
	s_sub_co_i32 s22, s31, s35
	s_cmp_lg_u32 s21, 0
	s_add_nc_u64 s[40:41], s[36:37], 2
	s_sub_co_ci_u32 s22, s22, s25
	s_sub_co_u32 s27, s17, s24
	s_cselect_b32 s30, -1, 0
	s_delay_alu instid0(SALU_CYCLE_1) | instskip(SKIP_1) | instid1(SALU_CYCLE_1)
	s_cmp_lg_u32 s30, 0
	s_sub_co_ci_u32 s22, s22, 0
	s_cmp_ge_u32 s22, s25
	s_cselect_b32 s30, -1, 0
	s_cmp_ge_u32 s27, s24
	s_cselect_b32 s27, -1, 0
	s_cmp_eq_u32 s22, s25
	s_cselect_b32 s22, s27, s30
	s_delay_alu instid0(SALU_CYCLE_1) | instskip(SKIP_4) | instid1(SALU_CYCLE_1)
	s_cmp_lg_u32 s22, 0
	s_cselect_b32 s22, s40, s38
	s_cselect_b32 s27, s41, s39
	s_cmp_lg_u32 s21, 0
	s_sub_co_ci_u32 s21, s31, s35
	s_cmp_ge_u32 s21, s25
	s_cselect_b32 s30, -1, 0
	s_cmp_ge_u32 s17, s24
	s_cselect_b32 s17, -1, 0
	s_cmp_eq_u32 s21, s25
	s_cselect_b32 s17, s17, s30
	s_delay_alu instid0(SALU_CYCLE_1) | instskip(SKIP_3) | instid1(SALU_CYCLE_1)
	s_cmp_lg_u32 s17, 0
	s_cselect_b32 s25, s27, s37
	s_cselect_b32 s24, s22, s36
	s_xor_b64 s[12:13], s[28:29], s[12:13]
	s_xor_b64 s[24:25], s[24:25], s[12:13]
	s_delay_alu instid0(SALU_CYCLE_1)
	s_sub_nc_u64 s[12:13], s[24:25], s[12:13]
	s_and_not1_b32 vcc_lo, exec_lo, s23
	s_cbranch_vccnz .LBB5_6
.LBB5_5:
	v_cvt_f32_u32_e32 v1, s2
	s_sub_co_i32 s13, 0, s2
	s_delay_alu instid0(VALU_DEP_1) | instskip(SKIP_1) | instid1(TRANS32_DEP_1)
	v_rcp_iflag_f32_e32 v1, v1
	v_nop
	v_mul_f32_e32 v1, 0x4f7ffffe, v1
	s_delay_alu instid0(VALU_DEP_1) | instskip(NEXT) | instid1(VALU_DEP_1)
	v_cvt_u32_f32_e32 v1, v1
	v_readfirstlane_b32 s12, v1
	s_mul_i32 s13, s13, s12
	s_delay_alu instid0(SALU_CYCLE_1) | instskip(NEXT) | instid1(SALU_CYCLE_1)
	s_mul_hi_u32 s13, s12, s13
	s_add_co_i32 s12, s12, s13
	s_delay_alu instid0(SALU_CYCLE_1) | instskip(NEXT) | instid1(SALU_CYCLE_1)
	s_mul_hi_u32 s12, s20, s12
	s_mul_i32 s13, s12, s2
	s_add_co_i32 s17, s12, 1
	s_sub_co_i32 s13, s20, s13
	s_delay_alu instid0(SALU_CYCLE_1)
	s_sub_co_i32 s20, s13, s2
	s_cmp_ge_u32 s13, s2
	s_cselect_b32 s12, s17, s12
	s_cselect_b32 s13, s20, s13
	s_add_co_i32 s17, s12, 1
	s_cmp_ge_u32 s13, s2
	s_cselect_b32 s12, s17, s12
.LBB5_6:
	s_add_nc_u64 s[18:19], s[18:19], 1
	s_delay_alu instid0(SALU_CYCLE_1) | instskip(NEXT) | instid1(SALU_CYCLE_1)
	s_mul_u64 s[18:19], s[18:19], s[10:11]
	s_add_nc_u64 s[18:19], s[18:19], -1
	s_delay_alu instid0(SALU_CYCLE_1) | instskip(NEXT) | instid1(SALU_CYCLE_1)
	s_or_b64 s[20:21], s[18:19], s[2:3]
	s_and_b64 s[20:21], s[20:21], 0xffffffff00000000
	s_delay_alu instid0(SALU_CYCLE_1)
	s_cmp_lg_u64 s[20:21], 0
	s_cbranch_scc0 .LBB5_47
; %bb.7:
	s_ashr_i32 s20, s3, 31
	s_delay_alu instid0(SALU_CYCLE_1) | instskip(NEXT) | instid1(SALU_CYCLE_1)
	s_mov_b32 s21, s20
	s_add_nc_u64 s[22:23], s[2:3], s[20:21]
	s_delay_alu instid0(SALU_CYCLE_1) | instskip(SKIP_4) | instid1(SALU_CYCLE_2)
	s_xor_b64 s[24:25], s[22:23], s[20:21]
	s_mov_b32 s23, 0
	s_cvt_f32_u32 s3, s24
	s_cvt_f32_u32 s11, s25
	s_sub_nc_u64 s[30:31], 0, s[24:25]
	s_fmamk_f32 s3, s11, 0x4f800000, s3
	s_delay_alu instid0(SALU_CYCLE_3) | instskip(NEXT) | instid1(TRANS32_DEP_1)
	v_s_rcp_f32 s3, s3
	s_mul_f32 s3, s3, 0x5f7ffffc
	s_delay_alu instid0(SALU_CYCLE_3) | instskip(NEXT) | instid1(SALU_CYCLE_3)
	s_mul_f32 s11, s3, 0x2f800000
	s_trunc_f32 s11, s11
	s_delay_alu instid0(SALU_CYCLE_3) | instskip(SKIP_1) | instid1(SALU_CYCLE_2)
	s_fmamk_f32 s3, s11, 0xcf800000, s3
	s_cvt_u32_f32 s29, s11
	s_cvt_u32_f32 s28, s3
	s_delay_alu instid0(SALU_CYCLE_3) | instskip(NEXT) | instid1(SALU_CYCLE_1)
	s_mul_u64 s[34:35], s[30:31], s[28:29]
	s_mul_hi_u32 s37, s28, s35
	s_mul_i32 s36, s28, s35
	s_mul_hi_u32 s22, s28, s34
	s_mul_i32 s11, s29, s34
	s_add_nc_u64 s[36:37], s[22:23], s[36:37]
	s_mul_hi_u32 s3, s29, s34
	s_mul_hi_u32 s13, s29, s35
	s_add_co_u32 s11, s36, s11
	s_add_co_ci_u32 s22, s37, s3
	s_mul_i32 s34, s29, s35
	s_add_co_ci_u32 s35, s13, 0
	s_delay_alu instid0(SALU_CYCLE_1) | instskip(NEXT) | instid1(SALU_CYCLE_1)
	s_add_nc_u64 s[34:35], s[22:23], s[34:35]
	s_add_co_u32 s28, s28, s34
	s_cselect_b32 s3, -1, 0
	s_delay_alu instid0(SALU_CYCLE_1) | instskip(SKIP_1) | instid1(SALU_CYCLE_1)
	s_cmp_lg_u32 s3, 0
	s_add_co_ci_u32 s29, s29, s35
	s_mul_u64 s[30:31], s[30:31], s[28:29]
	s_delay_alu instid0(SALU_CYCLE_1)
	s_mul_hi_u32 s35, s28, s31
	s_mul_i32 s34, s28, s31
	s_mul_hi_u32 s22, s28, s30
	s_mul_i32 s11, s29, s30
	s_add_nc_u64 s[34:35], s[22:23], s[34:35]
	s_mul_hi_u32 s3, s29, s30
	s_mul_hi_u32 s13, s29, s31
	s_add_co_u32 s11, s34, s11
	s_add_co_ci_u32 s22, s35, s3
	s_mul_i32 s30, s29, s31
	s_add_co_ci_u32 s31, s13, 0
	s_delay_alu instid0(SALU_CYCLE_1) | instskip(NEXT) | instid1(SALU_CYCLE_1)
	s_add_nc_u64 s[30:31], s[22:23], s[30:31]
	s_add_co_u32 s3, s28, s30
	s_cselect_b32 s11, -1, 0
	s_delay_alu instid0(SALU_CYCLE_1) | instskip(SKIP_2) | instid1(SALU_CYCLE_1)
	s_cmp_lg_u32 s11, 0
	s_add_co_ci_u32 s11, s29, s31
	s_ashr_i32 s28, s19, 31
	s_mov_b32 s29, s28
	s_delay_alu instid0(SALU_CYCLE_1) | instskip(NEXT) | instid1(SALU_CYCLE_1)
	s_add_nc_u64 s[30:31], s[18:19], s[28:29]
	s_xor_b64 s[30:31], s[30:31], s[28:29]
	s_delay_alu instid0(SALU_CYCLE_1)
	s_mul_hi_u32 s35, s30, s11
	s_mul_i32 s34, s30, s11
	s_mul_hi_u32 s22, s30, s3
	s_mul_hi_u32 s17, s31, s3
	s_mul_i32 s3, s31, s3
	s_add_nc_u64 s[34:35], s[22:23], s[34:35]
	s_mul_hi_u32 s13, s31, s11
	s_add_co_u32 s3, s34, s3
	s_add_co_ci_u32 s22, s35, s17
	s_mul_i32 s36, s31, s11
	s_add_co_ci_u32 s37, s13, 0
	s_delay_alu instid0(SALU_CYCLE_1) | instskip(NEXT) | instid1(SALU_CYCLE_1)
	s_add_nc_u64 s[34:35], s[22:23], s[36:37]
	s_and_b64 s[36:37], s[34:35], 0xffffffff00000000
	s_delay_alu instid0(SALU_CYCLE_1) | instskip(NEXT) | instid1(SALU_CYCLE_1)
	s_or_b32 s36, s36, s34
	s_mul_u64 s[34:35], s[24:25], s[36:37]
	s_add_nc_u64 s[38:39], s[36:37], 1
	s_sub_co_u32 s3, s30, s34
	s_cselect_b32 s11, -1, 0
	s_sub_co_i32 s13, s31, s35
	s_cmp_lg_u32 s11, 0
	s_add_nc_u64 s[40:41], s[36:37], 2
	s_sub_co_ci_u32 s13, s13, s25
	s_sub_co_u32 s17, s3, s24
	s_cselect_b32 s19, -1, 0
	s_delay_alu instid0(SALU_CYCLE_1) | instskip(SKIP_1) | instid1(SALU_CYCLE_1)
	s_cmp_lg_u32 s19, 0
	s_sub_co_ci_u32 s13, s13, 0
	s_cmp_ge_u32 s13, s25
	s_cselect_b32 s19, -1, 0
	s_cmp_ge_u32 s17, s24
	s_cselect_b32 s17, -1, 0
	s_cmp_eq_u32 s13, s25
	s_cselect_b32 s13, s17, s19
	s_delay_alu instid0(SALU_CYCLE_1) | instskip(SKIP_4) | instid1(SALU_CYCLE_1)
	s_cmp_lg_u32 s13, 0
	s_cselect_b32 s13, s40, s38
	s_cselect_b32 s17, s41, s39
	s_cmp_lg_u32 s11, 0
	s_sub_co_ci_u32 s11, s31, s35
	s_cmp_ge_u32 s11, s25
	s_cselect_b32 s19, -1, 0
	s_cmp_ge_u32 s3, s24
	s_cselect_b32 s3, -1, 0
	s_cmp_eq_u32 s11, s25
	s_cselect_b32 s3, s3, s19
	s_delay_alu instid0(SALU_CYCLE_1) | instskip(SKIP_3) | instid1(SALU_CYCLE_1)
	s_cmp_lg_u32 s3, 0
	s_cselect_b32 s25, s17, s37
	s_cselect_b32 s24, s13, s36
	s_xor_b64 s[20:21], s[28:29], s[20:21]
	s_xor_b64 s[24:25], s[24:25], s[20:21]
	s_delay_alu instid0(SALU_CYCLE_1)
	s_sub_nc_u64 s[20:21], s[24:25], s[20:21]
	s_load_b32 s17, s[0:1], 0x3c
	s_cbranch_execnz .LBB5_9
.LBB5_8:
	v_cvt_f32_u32_e32 v1, s2
	s_sub_co_i32 s11, 0, s2
	s_delay_alu instid0(VALU_DEP_1) | instskip(SKIP_1) | instid1(TRANS32_DEP_1)
	v_rcp_iflag_f32_e32 v1, v1
	v_nop
	v_mul_f32_e32 v1, 0x4f7ffffe, v1
	s_delay_alu instid0(VALU_DEP_1) | instskip(NEXT) | instid1(VALU_DEP_1)
	v_cvt_u32_f32_e32 v1, v1
	v_readfirstlane_b32 s3, v1
	s_mul_i32 s11, s11, s3
	s_delay_alu instid0(SALU_CYCLE_1) | instskip(NEXT) | instid1(SALU_CYCLE_1)
	s_mul_hi_u32 s11, s3, s11
	s_add_co_i32 s3, s3, s11
	s_delay_alu instid0(SALU_CYCLE_1) | instskip(NEXT) | instid1(SALU_CYCLE_1)
	s_mul_hi_u32 s3, s18, s3
	s_mul_i32 s11, s3, s2
	s_add_co_i32 s13, s3, 1
	s_sub_co_i32 s11, s18, s11
	s_delay_alu instid0(SALU_CYCLE_1)
	s_sub_co_i32 s18, s11, s2
	s_cmp_ge_u32 s11, s2
	s_cselect_b32 s3, s13, s3
	s_cselect_b32 s11, s18, s11
	s_add_co_i32 s13, s3, 1
	s_cmp_ge_u32 s11, s2
	s_cselect_b32 s20, s13, s3
.LBB5_9:
	s_bfe_u32 s2, ttmp6, 0x40010
	s_bfe_u32 s3, ttmp6, 0x40004
	s_add_co_i32 s2, s2, 1
	v_bfe_u32 v1, v0, 10, 10
	s_mul_i32 s11, ttmp7, s2
	s_wait_kmcnt 0x0
	s_lshr_b32 s2, s17, 16
	s_add_co_i32 s3, s3, s11
	s_cmp_eq_u32 s26, 0
	s_mov_b32 s11, exec_lo
	s_cselect_b32 s3, ttmp7, s3
	s_delay_alu instid0(SALU_CYCLE_1) | instskip(SKIP_1) | instid1(VALU_DEP_1)
	v_mad_u32 v2, s3, s2, v1
	s_mov_b32 s3, 0
	v_cmpx_gt_i32_e64 s8, v2
	s_cbranch_execz .LBB5_44
; %bb.10:
	s_mul_i32 s7, s7, s10
	s_mov_b32 s10, s8
	s_ashr_i32 s11, s8, 31
	s_add_co_i32 s7, s12, s7
	s_ashr_i32 s13, s9, 31
	s_mov_b32 s12, s9
	v_cvt_f32_u32_e32 v3, s10
	s_mul_u64 s[18:19], s[12:13], s[10:11]
	s_sub_co_i32 s30, s20, s7
	s_mul_i32 s4, s4, s16
	s_mul_u64 s[14:15], s[18:19], s[14:15]
	s_add_co_i32 s30, s30, 1
	v_rcp_iflag_f32_e32 v3, v3
	s_add_co_i32 s4, s4, s7
	s_lshl_b64 s[18:19], s[14:15], 2
	s_and_b32 s31, s17, 0xffff
	s_ashr_i32 s15, s5, 31
	s_ashr_i32 s7, s6, 31
	s_cmp_gt_i32 s30, 0
	s_clause 0x1
	s_load_b128 s[20:23], s[0:1], 0x0
	s_load_b32 s37, s[0:1], 0x34
	s_cselect_b32 s33, -1, 0
	s_abs_i32 s36, s9
	v_nop
	v_mul_f32_e32 v3, 0x4f7ffffe, v3
	s_wait_xcnt 0x0
	s_cvt_f32_u32 s0, s36
	s_mul_i32 s24, s6, s5
	s_ashr_i32 s34, s8, 31
	s_mul_i32 s26, s24, s4
	v_rcp_iflag_f32_e32 v4, s0
	v_cvt_u32_f32_e32 v3, v3
	s_sub_co_i32 s4, 0, s8
	s_add_co_i32 s14, s8, s34
	v_and_b32_e32 v16, 0x3ff, v0
	s_xor_b32 s35, s14, s34
	s_ashr_i32 s27, s26, 31
	v_readfirstlane_b32 s0, v4
	v_mul_lo_u32 v4, s4, v3
	v_cvt_f32_u32_e32 v1, s35
	s_sub_co_i32 s1, 0, s35
	s_wait_kmcnt 0x0
	s_add_nc_u64 s[16:17], s[22:23], s[18:19]
	s_mul_i32 s37, s37, s2
	s_sub_co_i32 s2, 0, s36
	v_rcp_iflag_f32_e32 v1, v1
	s_cvt_f32_i32 s38, s30
	s_ashr_i32 s25, s24, 31
	s_lshl_b64 s[18:19], s[26:27], 2
	s_mov_b32 s14, s5
	v_mul_hi_u32 v4, v3, v4
	s_mov_b32 s5, s3
	v_mul_f32_e32 v1, 0x4f7ffffe, v1
	s_add_nc_u64 s[18:19], s[20:21], s[18:19]
	s_mov_b64 s[20:21], 0xffffffff
	s_lshl_b64 s[22:23], s[24:25], 2
	s_ashr_i32 s24, s11, 31
	s_mov_b32 s39, 0
	s_delay_alu instid0(VALU_DEP_2) | instskip(SKIP_1) | instid1(VALU_DEP_1)
	v_add_nc_u32_e32 v18, v3, v4
	v_cvt_u32_f32_e32 v0, v1
	v_mul_lo_u32 v1, s1, v0
	s_mul_f32 s1, s0, 0x4f7ffffe
	v_cmp_gt_i32_e64 s0, s9, v16
	s_delay_alu instid0(SALU_CYCLE_2) | instskip(NEXT) | instid1(SALU_CYCLE_3)
	s_cvt_u32_f32 s1, s1
	s_mul_i32 s2, s2, s1
	v_mul_hi_u32 v5, v0, v1
	v_mov_b32_e32 v1, 0
	s_mul_hi_u32 s2, s1, s2
	s_delay_alu instid0(SALU_CYCLE_1) | instskip(NEXT) | instid1(VALU_DEP_2)
	s_add_co_i32 s4, s1, s2
	v_add_nc_u32_e32 v17, v0, v5
	s_branch .LBB5_12
.LBB5_11:                               ;   in Loop: Header=BB5_12 Depth=1
	s_or_b32 exec_lo, exec_lo, s25
	v_add_nc_u32_e32 v2, s37, v2
	s_delay_alu instid0(VALU_DEP_1) | instskip(SKIP_1) | instid1(SALU_CYCLE_1)
	v_cmp_le_i32_e32 vcc_lo, s8, v2
	s_or_b32 s39, vcc_lo, s39
	s_and_not1_b32 exec_lo, exec_lo, s39
	s_cbranch_execz .LBB5_44
.LBB5_12:                               ; =>This Loop Header: Depth=1
                                        ;     Child Loop BB5_27 Depth 2
                                        ;       Child Loop BB5_38 Depth 3
                                        ;         Child Loop BB5_41 Depth 4
                                        ;           Child Loop BB5_43 Depth 5
	v_dual_mov_b32 v4, v1 :: v_dual_ashrrev_i32 v3, 31, v2
	s_delay_alu instid0(VALU_DEP_1) | instskip(NEXT) | instid1(VALU_DEP_1)
	v_or_b32_e32 v5, s11, v3
	v_cmp_ne_u64_e32 vcc_lo, 0, v[4:5]
                                        ; implicit-def: $vgpr4_vgpr5
	s_and_saveexec_b32 s1, vcc_lo
	s_delay_alu instid0(SALU_CYCLE_1)
	s_xor_b32 s1, exec_lo, s1
	s_cbranch_execz .LBB5_14
; %bb.13:                               ;   in Loop: Header=BB5_12 Depth=1
	v_ashrrev_i32_e32 v0, 31, v2
	s_delay_alu instid0(VALU_DEP_1) | instskip(NEXT) | instid1(VALU_DEP_1)
	v_add_nc_u32_e32 v4, v2, v0
	v_xor_b32_e32 v4, v4, v0
	s_delay_alu instid0(VALU_DEP_1) | instskip(NEXT) | instid1(VALU_DEP_1)
	v_mul_hi_u32 v5, v4, v17
	v_mul_lo_u32 v6, v5, s35
	s_delay_alu instid0(VALU_DEP_1) | instskip(SKIP_1) | instid1(VALU_DEP_2)
	v_dual_sub_nc_u32 v4, v4, v6 :: v_dual_add_nc_u32 v6, 1, v5
	v_xor_b32_e32 v0, s34, v0
	v_subrev_nc_u32_e32 v7, s35, v4
	v_cmp_le_u32_e32 vcc_lo, s35, v4
	s_delay_alu instid0(VALU_DEP_2) | instskip(NEXT) | instid1(VALU_DEP_1)
	v_dual_cndmask_b32 v4, v4, v7 :: v_dual_cndmask_b32 v5, v5, v6
	v_cmp_le_u32_e32 vcc_lo, s35, v4
	s_delay_alu instid0(VALU_DEP_2) | instskip(NEXT) | instid1(VALU_DEP_1)
	v_add_nc_u32_e32 v6, 1, v5
	v_cndmask_b32_e32 v4, v5, v6, vcc_lo
	s_delay_alu instid0(VALU_DEP_1) | instskip(NEXT) | instid1(VALU_DEP_1)
	v_xor_b32_e32 v4, v4, v0
	v_sub_nc_u32_e32 v4, v4, v0
	s_delay_alu instid0(VALU_DEP_1)
	v_ashrrev_i32_e32 v5, 31, v4
.LBB5_14:                               ;   in Loop: Header=BB5_12 Depth=1
	s_and_not1_saveexec_b32 s1, s1
	s_cbranch_execz .LBB5_16
; %bb.15:                               ;   in Loop: Header=BB5_12 Depth=1
	v_mul_hi_u32 v0, v2, v18
	s_delay_alu instid0(VALU_DEP_1) | instskip(SKIP_1) | instid1(VALU_DEP_2)
	v_mul_lo_u32 v4, v0, s10
	v_add_nc_u32_e32 v5, 1, v0
	v_sub_nc_u32_e32 v4, v2, v4
	s_delay_alu instid0(VALU_DEP_1) | instskip(NEXT) | instid1(VALU_DEP_3)
	v_cmp_le_u32_e32 vcc_lo, s10, v4
	v_cndmask_b32_e32 v0, v0, v5, vcc_lo
	v_subrev_nc_u32_e32 v6, s10, v4
	s_delay_alu instid0(VALU_DEP_1) | instskip(NEXT) | instid1(VALU_DEP_1)
	v_dual_cndmask_b32 v4, v4, v6 :: v_dual_add_nc_u32 v5, 1, v0
	v_cmp_le_u32_e32 vcc_lo, s10, v4
	s_delay_alu instid0(VALU_DEP_2) | instskip(NEXT) | instid1(VALU_DEP_1)
	v_cndmask_b32_e32 v0, v0, v5, vcc_lo
	v_mov_b64_e32 v[4:5], v[0:1]
.LBB5_16:                               ;   in Loop: Header=BB5_12 Depth=1
	s_or_b32 exec_lo, exec_lo, s1
	s_delay_alu instid0(VALU_DEP_1) | instskip(NEXT) | instid1(VALU_DEP_1)
	v_mul_u64_e32 v[6:7], s[10:11], v[4:5]
	v_sub_nc_u64_e32 v[6:7], v[2:3], v[6:7]
	s_delay_alu instid0(VALU_DEP_1) | instskip(NEXT) | instid1(VALU_DEP_1)
	v_mul_u64_e32 v[8:9], s[14:15], v[6:7]
	v_dual_mov_b32 v6, v1 :: v_dual_bitop2_b32 v7, s11, v9 bitop3:0x54
	s_delay_alu instid0(VALU_DEP_1) | instskip(SKIP_1) | instid1(SALU_CYCLE_1)
	v_cmp_ne_u64_e32 vcc_lo, 0, v[6:7]
                                        ; implicit-def: $vgpr6_vgpr7
	s_and_saveexec_b32 s1, vcc_lo
	s_xor_b32 s28, exec_lo, s1
	s_cbranch_execz .LBB5_18
; %bb.17:                               ;   in Loop: Header=BB5_12 Depth=1
	s_mov_b32 s25, s24
	v_dual_mov_b32 v13, v1 :: v_dual_ashrrev_i32 v6, 31, v9
	s_add_nc_u64 s[26:27], s[10:11], s[24:25]
	s_delay_alu instid0(SALU_CYCLE_1) | instskip(NEXT) | instid1(VALU_DEP_1)
	s_xor_b64 s[26:27], s[26:27], s[24:25]
	v_mov_b32_e32 v7, v6
	s_cvt_f32_u32 s1, s26
	s_cvt_f32_u32 s2, s27
	s_sub_nc_u64 s[42:43], 0, s[26:27]
	s_delay_alu instid0(VALU_DEP_1) | instskip(NEXT) | instid1(SALU_CYCLE_1)
	v_add_nc_u64_e32 v[8:9], v[8:9], v[6:7]
	s_fmamk_f32 s1, s2, 0x4f800000, s1
	s_delay_alu instid0(SALU_CYCLE_3) | instskip(NEXT) | instid1(VALU_DEP_1)
	v_s_rcp_f32 s1, s1
	v_xor_b32_e32 v0, v8, v6
	s_delay_alu instid0(VALU_DEP_2) | instskip(SKIP_1) | instid1(TRANS32_DEP_1)
	v_xor_b32_e32 v12, v9, v6
	v_mov_b32_e32 v21, v1
	s_mul_f32 s1, s1, 0x5f7ffffc
	s_delay_alu instid0(SALU_CYCLE_3) | instskip(NEXT) | instid1(SALU_CYCLE_3)
	s_mul_f32 s2, s1, 0x2f800000
	s_trunc_f32 s2, s2
	s_delay_alu instid0(SALU_CYCLE_3) | instskip(SKIP_1) | instid1(SALU_CYCLE_2)
	s_fmamk_f32 s1, s2, 0xcf800000, s1
	s_cvt_u32_f32 s41, s2
	s_cvt_u32_f32 s40, s1
	s_delay_alu instid0(SALU_CYCLE_3) | instskip(NEXT) | instid1(SALU_CYCLE_1)
	s_mul_u64 s[44:45], s[42:43], s[40:41]
	s_mul_hi_u32 s47, s40, s45
	s_mul_i32 s46, s40, s45
	s_mul_hi_u32 s2, s40, s44
	s_mul_i32 s25, s41, s44
	s_add_nc_u64 s[46:47], s[2:3], s[46:47]
	s_mul_hi_u32 s1, s41, s44
	s_mul_hi_u32 s29, s41, s45
	s_add_co_u32 s2, s46, s25
	s_add_co_ci_u32 s2, s47, s1
	s_mul_i32 s44, s41, s45
	s_add_co_ci_u32 s45, s29, 0
	s_delay_alu instid0(SALU_CYCLE_1) | instskip(NEXT) | instid1(SALU_CYCLE_1)
	s_add_nc_u64 s[44:45], s[2:3], s[44:45]
	s_add_co_u32 s40, s40, s44
	s_cselect_b32 s1, -1, 0
	s_delay_alu instid0(SALU_CYCLE_1) | instskip(SKIP_1) | instid1(SALU_CYCLE_1)
	s_cmp_lg_u32 s1, 0
	s_add_co_ci_u32 s41, s41, s45
	s_mul_u64 s[42:43], s[42:43], s[40:41]
	s_delay_alu instid0(SALU_CYCLE_1)
	s_mul_hi_u32 s45, s40, s43
	s_mul_i32 s44, s40, s43
	s_mul_hi_u32 s2, s40, s42
	s_mul_i32 s25, s41, s42
	s_add_nc_u64 s[44:45], s[2:3], s[44:45]
	s_mul_hi_u32 s1, s41, s42
	s_mul_hi_u32 s29, s41, s43
	s_add_co_u32 s2, s44, s25
	s_add_co_ci_u32 s2, s45, s1
	s_mul_i32 s42, s41, s43
	s_add_co_ci_u32 s43, s29, 0
	s_delay_alu instid0(SALU_CYCLE_1) | instskip(NEXT) | instid1(SALU_CYCLE_1)
	s_add_nc_u64 s[42:43], s[2:3], s[42:43]
	s_add_co_u32 s40, s40, s42
	s_cselect_b32 s1, -1, 0
	v_mul_hi_u32 v20, v0, s40
	s_cmp_lg_u32 s1, 0
	s_add_co_ci_u32 s2, s41, s43
	s_and_b64 s[42:43], s[40:41], s[20:21]
	v_mul_u64_e32 v[10:11], s[2:3], v[0:1]
	v_mul_u64_e32 v[8:9], s[42:43], v[12:13]
	;; [unrolled: 1-line block ×3, first 2 shown]
	s_delay_alu instid0(VALU_DEP_3) | instskip(NEXT) | instid1(VALU_DEP_1)
	v_add_nc_u64_e32 v[10:11], v[20:21], v[10:11]
	v_add_co_u32 v5, vcc_lo, v10, v8
	s_delay_alu instid0(VALU_DEP_2) | instskip(NEXT) | instid1(VALU_DEP_4)
	v_add_co_ci_u32_e32 v20, vcc_lo, v11, v9, vcc_lo
	v_add_co_ci_u32_e32 v15, vcc_lo, 0, v15, vcc_lo
	s_delay_alu instid0(VALU_DEP_1) | instskip(NEXT) | instid1(VALU_DEP_1)
	v_add_nc_u64_e32 v[8:9], v[20:21], v[14:15]
	v_mul_u64_e32 v[10:11], s[26:27], v[8:9]
	s_delay_alu instid0(VALU_DEP_1) | instskip(NEXT) | instid1(VALU_DEP_2)
	v_sub_nc_u32_e32 v5, v12, v11
	v_sub_co_u32 v0, vcc_lo, v0, v10
	s_delay_alu instid0(VALU_DEP_1) | instskip(NEXT) | instid1(VALU_DEP_3)
	v_sub_co_ci_u32_e64 v14, null, v12, v11, vcc_lo
	v_subrev_co_ci_u32_e64 v5, null, s27, v5, vcc_lo
	s_delay_alu instid0(VALU_DEP_3) | instskip(SKIP_1) | instid1(VALU_DEP_3)
	v_sub_co_u32 v7, s1, v0, s26
	v_add_nc_u64_e32 v[12:13], 1, v[8:9]
	v_subrev_co_ci_u32_e64 v5, null, 0, v5, s1
	s_delay_alu instid0(VALU_DEP_3) | instskip(SKIP_1) | instid1(VALU_DEP_3)
	v_cmp_le_u32_e32 vcc_lo, s26, v7
	v_cndmask_b32_e64 v7, 0, -1, vcc_lo
	v_cmp_le_u32_e32 vcc_lo, s27, v5
	v_cndmask_b32_e64 v10, 0, -1, vcc_lo
	;; [unrolled: 2-line block ×4, first 2 shown]
	v_cmp_eq_u32_e32 vcc_lo, s27, v5
	v_cndmask_b32_e32 v5, v10, v7, vcc_lo
	v_cmp_eq_u32_e32 vcc_lo, s27, v14
	v_add_nc_u64_e32 v[10:11], 2, v[8:9]
	v_cndmask_b32_e32 v0, v15, v0, vcc_lo
	s_delay_alu instid0(VALU_DEP_4) | instskip(NEXT) | instid1(VALU_DEP_3)
	v_cmp_ne_u32_e32 vcc_lo, 0, v5
	v_cndmask_b32_e32 v5, v13, v11, vcc_lo
	s_delay_alu instid0(VALU_DEP_3) | instskip(NEXT) | instid1(VALU_DEP_1)
	v_cmp_ne_u32_e64 s1, 0, v0
	v_dual_cndmask_b32 v0, v12, v10, vcc_lo :: v_dual_cndmask_b32 v5, v9, v5, s1
	s_delay_alu instid0(VALU_DEP_1) | instskip(NEXT) | instid1(VALU_DEP_1)
	v_dual_cndmask_b32 v0, v8, v0, s1 :: v_dual_bitop2_b32 v6, s24, v6 bitop3:0x14
	v_dual_mov_b32 v7, v6 :: v_dual_bitop2_b32 v9, v5, v6 bitop3:0x14
	s_delay_alu instid0(VALU_DEP_2) | instskip(NEXT) | instid1(VALU_DEP_1)
	v_xor_b32_e32 v8, v0, v6
	v_sub_nc_u64_e32 v[6:7], v[8:9], v[6:7]
                                        ; implicit-def: $vgpr8_vgpr9
.LBB5_18:                               ;   in Loop: Header=BB5_12 Depth=1
	s_and_not1_saveexec_b32 s1, s28
	s_cbranch_execz .LBB5_20
; %bb.19:                               ;   in Loop: Header=BB5_12 Depth=1
	s_delay_alu instid0(VALU_DEP_3) | instskip(NEXT) | instid1(VALU_DEP_1)
	v_mul_hi_u32 v0, v8, v18
	v_mul_lo_u32 v5, v0, s10
	s_delay_alu instid0(VALU_DEP_1) | instskip(NEXT) | instid1(VALU_DEP_1)
	v_dual_add_nc_u32 v6, 1, v0 :: v_dual_sub_nc_u32 v5, v8, v5
	v_subrev_nc_u32_e32 v7, s10, v5
	v_cmp_le_u32_e32 vcc_lo, s10, v5
	s_delay_alu instid0(VALU_DEP_2) | instskip(NEXT) | instid1(VALU_DEP_1)
	v_dual_cndmask_b32 v5, v5, v7 :: v_dual_cndmask_b32 v0, v0, v6
	v_cmp_le_u32_e32 vcc_lo, s10, v5
	s_delay_alu instid0(VALU_DEP_2) | instskip(NEXT) | instid1(VALU_DEP_1)
	v_add_nc_u32_e32 v6, 1, v0
	v_cndmask_b32_e32 v6, v0, v6, vcc_lo
.LBB5_20:                               ;   in Loop: Header=BB5_12 Depth=1
	s_or_b32 exec_lo, exec_lo, s1
	v_add_nc_u64_e32 v[10:11], 1, v[2:3]
	s_delay_alu instid0(VALU_DEP_1) | instskip(NEXT) | instid1(VALU_DEP_1)
	v_mad_nc_u64_u32 v[8:9], v10, s14, -1
	v_mad_u32 v0, v11, s14, v9
	s_delay_alu instid0(VALU_DEP_1) | instskip(NEXT) | instid1(VALU_DEP_1)
	v_mad_u32 v9, v10, s15, v0
	v_dual_mov_b32 v10, v1 :: v_dual_bitop2_b32 v11, s11, v9 bitop3:0x54
	s_delay_alu instid0(VALU_DEP_1) | instskip(SKIP_1) | instid1(SALU_CYCLE_1)
	v_cmp_ne_u64_e32 vcc_lo, 0, v[10:11]
                                        ; implicit-def: $vgpr10_vgpr11
	s_and_saveexec_b32 s1, vcc_lo
	s_xor_b32 s28, exec_lo, s1
	s_cbranch_execnz .LBB5_23
; %bb.21:                               ;   in Loop: Header=BB5_12 Depth=1
	s_and_not1_saveexec_b32 s1, s28
	s_cbranch_execnz .LBB5_24
.LBB5_22:                               ;   in Loop: Header=BB5_12 Depth=1
	s_or_b32 exec_lo, exec_lo, s1
	s_and_saveexec_b32 s25, s0
	s_cbranch_execz .LBB5_11
	s_branch .LBB5_25
.LBB5_23:                               ;   in Loop: Header=BB5_12 Depth=1
	s_mov_b32 s25, s24
	v_dual_mov_b32 v15, v1 :: v_dual_ashrrev_i32 v10, 31, v9
	s_add_nc_u64 s[26:27], s[10:11], s[24:25]
	s_delay_alu instid0(SALU_CYCLE_1) | instskip(NEXT) | instid1(VALU_DEP_1)
	s_xor_b64 s[26:27], s[26:27], s[24:25]
	v_mov_b32_e32 v11, v10
	s_cvt_f32_u32 s1, s26
	s_cvt_f32_u32 s2, s27
	s_sub_nc_u64 s[42:43], 0, s[26:27]
	s_delay_alu instid0(VALU_DEP_1) | instskip(NEXT) | instid1(SALU_CYCLE_1)
	v_add_nc_u64_e32 v[8:9], v[8:9], v[10:11]
	s_fmamk_f32 s1, s2, 0x4f800000, s1
	s_delay_alu instid0(SALU_CYCLE_3) | instskip(NEXT) | instid1(VALU_DEP_1)
	v_s_rcp_f32 s1, s1
	v_xor_b32_e32 v0, v8, v10
	s_delay_alu instid0(VALU_DEP_2) | instskip(SKIP_1) | instid1(TRANS32_DEP_1)
	v_xor_b32_e32 v14, v9, v10
	v_dual_mov_b32 v23, v1 :: v_dual_bitop2_b32 v10, s24, v10 bitop3:0x14
	s_mul_f32 s1, s1, 0x5f7ffffc
	s_delay_alu instid0(SALU_CYCLE_3) | instskip(NEXT) | instid1(SALU_CYCLE_3)
	s_mul_f32 s2, s1, 0x2f800000
	s_trunc_f32 s2, s2
	s_delay_alu instid0(SALU_CYCLE_3) | instskip(SKIP_1) | instid1(SALU_CYCLE_2)
	s_fmamk_f32 s1, s2, 0xcf800000, s1
	s_cvt_u32_f32 s41, s2
	s_cvt_u32_f32 s40, s1
	s_delay_alu instid0(SALU_CYCLE_3) | instskip(NEXT) | instid1(SALU_CYCLE_1)
	s_mul_u64 s[44:45], s[42:43], s[40:41]
	s_mul_hi_u32 s47, s40, s45
	s_mul_i32 s46, s40, s45
	s_mul_hi_u32 s2, s40, s44
	s_mul_i32 s25, s41, s44
	s_add_nc_u64 s[46:47], s[2:3], s[46:47]
	s_mul_hi_u32 s1, s41, s44
	s_mul_hi_u32 s29, s41, s45
	s_add_co_u32 s2, s46, s25
	s_add_co_ci_u32 s2, s47, s1
	s_mul_i32 s44, s41, s45
	s_add_co_ci_u32 s45, s29, 0
	s_delay_alu instid0(SALU_CYCLE_1) | instskip(NEXT) | instid1(SALU_CYCLE_1)
	s_add_nc_u64 s[44:45], s[2:3], s[44:45]
	s_add_co_u32 s40, s40, s44
	s_cselect_b32 s1, -1, 0
	s_delay_alu instid0(SALU_CYCLE_1) | instskip(SKIP_1) | instid1(SALU_CYCLE_1)
	s_cmp_lg_u32 s1, 0
	s_add_co_ci_u32 s41, s41, s45
	s_mul_u64 s[42:43], s[42:43], s[40:41]
	s_delay_alu instid0(SALU_CYCLE_1)
	s_mul_hi_u32 s45, s40, s43
	s_mul_i32 s44, s40, s43
	s_mul_hi_u32 s2, s40, s42
	s_mul_i32 s25, s41, s42
	s_add_nc_u64 s[44:45], s[2:3], s[44:45]
	s_mul_hi_u32 s1, s41, s42
	s_mul_hi_u32 s29, s41, s43
	s_add_co_u32 s2, s44, s25
	s_add_co_ci_u32 s2, s45, s1
	s_mul_i32 s42, s41, s43
	s_add_co_ci_u32 s43, s29, 0
	s_delay_alu instid0(SALU_CYCLE_1) | instskip(NEXT) | instid1(SALU_CYCLE_1)
	s_add_nc_u64 s[42:43], s[2:3], s[42:43]
	s_add_co_u32 s40, s40, s42
	s_cselect_b32 s1, -1, 0
	v_mul_hi_u32 v22, v0, s40
	s_cmp_lg_u32 s1, 0
	s_add_co_ci_u32 s2, s41, s43
	s_and_b64 s[42:43], s[40:41], s[20:21]
	v_mul_u64_e32 v[12:13], s[2:3], v[0:1]
	v_mul_u64_e32 v[8:9], s[42:43], v[14:15]
	;; [unrolled: 1-line block ×3, first 2 shown]
	s_delay_alu instid0(VALU_DEP_3) | instskip(NEXT) | instid1(VALU_DEP_1)
	v_add_nc_u64_e32 v[12:13], v[22:23], v[12:13]
	v_add_co_u32 v3, vcc_lo, v12, v8
	s_delay_alu instid0(VALU_DEP_2) | instskip(NEXT) | instid1(VALU_DEP_4)
	v_add_co_ci_u32_e32 v22, vcc_lo, v13, v9, vcc_lo
	v_add_co_ci_u32_e32 v21, vcc_lo, 0, v21, vcc_lo
	s_delay_alu instid0(VALU_DEP_1) | instskip(NEXT) | instid1(VALU_DEP_1)
	v_add_nc_u64_e32 v[8:9], v[22:23], v[20:21]
	v_mul_u64_e32 v[12:13], s[26:27], v[8:9]
	s_delay_alu instid0(VALU_DEP_1) | instskip(NEXT) | instid1(VALU_DEP_2)
	v_sub_nc_u32_e32 v3, v14, v13
	v_sub_co_u32 v0, vcc_lo, v0, v12
	s_delay_alu instid0(VALU_DEP_1) | instskip(NEXT) | instid1(VALU_DEP_3)
	v_sub_co_ci_u32_e64 v7, null, v14, v13, vcc_lo
	v_subrev_co_ci_u32_e64 v3, null, s27, v3, vcc_lo
	s_delay_alu instid0(VALU_DEP_3) | instskip(SKIP_1) | instid1(VALU_DEP_3)
	v_sub_co_u32 v5, s1, v0, s26
	v_add_nc_u64_e32 v[12:13], 2, v[8:9]
	v_subrev_co_ci_u32_e64 v3, null, 0, v3, s1
	s_delay_alu instid0(VALU_DEP_3) | instskip(SKIP_2) | instid1(VALU_DEP_4)
	v_cmp_le_u32_e32 vcc_lo, s26, v5
	v_add_nc_u64_e32 v[14:15], 1, v[8:9]
	v_cndmask_b32_e64 v5, 0, -1, vcc_lo
	v_cmp_le_u32_e32 vcc_lo, s27, v3
	v_cndmask_b32_e64 v11, 0, -1, vcc_lo
	v_cmp_le_u32_e32 vcc_lo, s26, v0
	;; [unrolled: 2-line block ×3, first 2 shown]
	v_cndmask_b32_e64 v19, 0, -1, vcc_lo
	v_cmp_eq_u32_e32 vcc_lo, s27, v3
	v_cndmask_b32_e32 v3, v11, v5, vcc_lo
	v_cmp_eq_u32_e32 vcc_lo, s27, v7
	s_delay_alu instid0(VALU_DEP_4) | instskip(NEXT) | instid1(VALU_DEP_3)
	v_cndmask_b32_e32 v0, v19, v0, vcc_lo
	v_cmp_ne_u32_e32 vcc_lo, 0, v3
	s_delay_alu instid0(VALU_DEP_2) | instskip(SKIP_1) | instid1(VALU_DEP_1)
	v_cmp_ne_u32_e64 s1, 0, v0
	v_dual_cndmask_b32 v3, v15, v13 :: v_dual_cndmask_b32 v0, v14, v12
	v_dual_cndmask_b32 v3, v9, v3, s1 :: v_dual_cndmask_b32 v0, v8, v0, s1
	s_delay_alu instid0(VALU_DEP_1) | instskip(NEXT) | instid1(VALU_DEP_2)
	v_dual_mov_b32 v11, v10 :: v_dual_bitop2_b32 v9, v3, v10 bitop3:0x14
	v_xor_b32_e32 v8, v0, v10
	s_delay_alu instid0(VALU_DEP_1)
	v_sub_nc_u64_e32 v[10:11], v[8:9], v[10:11]
                                        ; implicit-def: $vgpr8_vgpr9
	s_and_not1_saveexec_b32 s1, s28
	s_cbranch_execz .LBB5_22
.LBB5_24:                               ;   in Loop: Header=BB5_12 Depth=1
	v_mul_hi_u32 v0, v8, v18
	s_delay_alu instid0(VALU_DEP_1) | instskip(NEXT) | instid1(VALU_DEP_1)
	v_mul_lo_u32 v3, v0, s10
	v_dual_add_nc_u32 v5, 1, v0 :: v_dual_sub_nc_u32 v3, v8, v3
	s_delay_alu instid0(VALU_DEP_1) | instskip(SKIP_1) | instid1(VALU_DEP_2)
	v_subrev_nc_u32_e32 v7, s10, v3
	v_cmp_le_u32_e32 vcc_lo, s10, v3
	v_dual_cndmask_b32 v3, v3, v7 :: v_dual_cndmask_b32 v0, v0, v5
	s_delay_alu instid0(VALU_DEP_1) | instskip(NEXT) | instid1(VALU_DEP_2)
	v_cmp_le_u32_e32 vcc_lo, s10, v3
	v_add_nc_u32_e32 v5, 1, v0
	s_delay_alu instid0(VALU_DEP_1)
	v_cndmask_b32_e32 v10, v0, v5, vcc_lo
	s_or_b32 exec_lo, exec_lo, s1
	s_and_saveexec_b32 s25, s0
	s_cbranch_execz .LBB5_11
.LBB5_25:                               ;   in Loop: Header=BB5_12 Depth=1
	v_mad_u32 v0, v4, s14, v6
	v_mul_lo_u32 v4, v2, s9
	s_mov_b32 s40, 0
	s_delay_alu instid0(VALU_DEP_2) | instskip(SKIP_1) | instid1(VALU_DEP_2)
	v_mul_lo_u32 v6, s6, v0
	v_sub_nc_u32_e32 v0, v10, v0
	v_dual_ashrrev_i32 v5, 31, v4 :: v_dual_ashrrev_i32 v7, 31, v6
	s_delay_alu instid0(VALU_DEP_2) | instskip(NEXT) | instid1(VALU_DEP_2)
	v_dual_mov_b32 v0, v16 :: v_dual_add_nc_u32 v3, 1, v0
	v_lshl_add_u64 v[4:5], v[4:5], 2, s[16:17]
	s_delay_alu instid0(VALU_DEP_3) | instskip(NEXT) | instid1(VALU_DEP_3)
	v_lshl_add_u64 v[6:7], v[6:7], 2, s[18:19]
	v_cvt_f32_i32_e32 v19, v3
	v_cmp_lt_i32_e64 s1, 0, v3
	s_branch .LBB5_27
.LBB5_26:                               ;   in Loop: Header=BB5_27 Depth=2
	v_add_nc_u32_e32 v0, s31, v0
	s_delay_alu instid0(VALU_DEP_1) | instskip(SKIP_1) | instid1(SALU_CYCLE_1)
	v_cmp_le_i32_e32 vcc_lo, s9, v0
	s_or_b32 s40, vcc_lo, s40
	s_and_not1_b32 exec_lo, exec_lo, s40
	s_cbranch_execz .LBB5_11
.LBB5_27:                               ;   Parent Loop BB5_12 Depth=1
                                        ; =>  This Loop Header: Depth=2
                                        ;       Child Loop BB5_38 Depth 3
                                        ;         Child Loop BB5_41 Depth 4
                                        ;           Child Loop BB5_43 Depth 5
	v_mul_u64_e32 v[8:9], s[4:5], v[0:1]
	s_delay_alu instid0(VALU_DEP_1) | instskip(NEXT) | instid1(VALU_DEP_1)
	v_mul_lo_u32 v8, v9, s36
	v_dual_add_nc_u32 v10, 1, v9 :: v_dual_sub_nc_u32 v8, v0, v8
	s_delay_alu instid0(VALU_DEP_1) | instskip(SKIP_1) | instid1(VALU_DEP_2)
	v_subrev_nc_u32_e32 v11, s36, v8
	v_cmp_le_u32_e32 vcc_lo, s36, v8
	v_dual_cndmask_b32 v9, v9, v10 :: v_dual_cndmask_b32 v8, v8, v11
	s_delay_alu instid0(VALU_DEP_1) | instskip(NEXT) | instid1(VALU_DEP_2)
	v_add_nc_u32_e32 v10, 1, v9
	v_cmp_le_u32_e32 vcc_lo, s36, v8
	s_delay_alu instid0(VALU_DEP_2) | instskip(NEXT) | instid1(VALU_DEP_1)
	v_cndmask_b32_e32 v8, v9, v10, vcc_lo
	v_xor_b32_e32 v8, s13, v8
	s_delay_alu instid0(VALU_DEP_1) | instskip(NEXT) | instid1(VALU_DEP_1)
	v_subrev_nc_u32_e32 v8, s13, v8
	v_ashrrev_i32_e32 v9, 31, v8
	s_delay_alu instid0(VALU_DEP_1) | instskip(NEXT) | instid1(VALU_DEP_1)
	v_mul_u64_e32 v[10:11], s[12:13], v[8:9]
	v_sub_nc_u64_e32 v[10:11], v[0:1], v[10:11]
	s_delay_alu instid0(VALU_DEP_1) | instskip(NEXT) | instid1(VALU_DEP_1)
	v_mul_u64_e32 v[12:13], s[6:7], v[10:11]
	v_dual_mov_b32 v10, v1 :: v_dual_bitop2_b32 v11, s13, v13 bitop3:0x54
	s_delay_alu instid0(VALU_DEP_1) | instskip(SKIP_1) | instid1(SALU_CYCLE_1)
	v_cmp_ne_u64_e32 vcc_lo, 0, v[10:11]
                                        ; implicit-def: $vgpr10_vgpr11
	s_and_saveexec_b32 s2, vcc_lo
	s_xor_b32 s41, exec_lo, s2
	s_cbranch_execz .LBB5_29
; %bb.28:                               ;   in Loop: Header=BB5_27 Depth=2
	s_ashr_i32 s26, s13, 31
	v_dual_mov_b32 v15, v1 :: v_dual_ashrrev_i32 v10, 31, v13
	s_mov_b32 s27, s26
	v_dual_mov_b32 v23, v1 :: v_dual_mov_b32 v27, v1
	s_add_nc_u64 s[28:29], s[12:13], s[26:27]
	s_delay_alu instid0(VALU_DEP_2) | instskip(SKIP_1) | instid1(SALU_CYCLE_1)
	v_mov_b32_e32 v11, v10
	s_xor_b64 s[28:29], s[28:29], s[26:27]
	s_cvt_f32_u32 s2, s28
	s_cvt_f32_u32 s27, s29
	s_sub_nc_u64 s[44:45], 0, s[28:29]
	v_add_nc_u64_e32 v[12:13], v[12:13], v[10:11]
	s_delay_alu instid0(SALU_CYCLE_1) | instskip(NEXT) | instid1(SALU_CYCLE_3)
	s_fmamk_f32 s2, s27, 0x4f800000, s2
	v_s_rcp_f32 s2, s2
	s_delay_alu instid0(VALU_DEP_1) | instskip(NEXT) | instid1(VALU_DEP_2)
	v_xor_b32_e32 v14, v12, v10
	v_xor_b32_e32 v22, v13, v10
	;; [unrolled: 1-line block ×3, first 2 shown]
	s_delay_alu instid0(TRANS32_DEP_1) | instskip(NEXT) | instid1(SALU_CYCLE_3)
	s_mul_f32 s2, s2, 0x5f7ffffc
	s_mul_f32 s27, s2, 0x2f800000
	s_delay_alu instid0(SALU_CYCLE_3) | instskip(NEXT) | instid1(SALU_CYCLE_3)
	s_trunc_f32 s27, s27
	s_fmamk_f32 s2, s27, 0xcf800000, s2
	s_cvt_u32_f32 s43, s27
	s_delay_alu instid0(SALU_CYCLE_2) | instskip(NEXT) | instid1(SALU_CYCLE_3)
	s_cvt_u32_f32 s42, s2
	s_mul_u64 s[46:47], s[44:45], s[42:43]
	s_delay_alu instid0(SALU_CYCLE_1)
	s_mul_hi_u32 s49, s42, s47
	s_mul_i32 s48, s42, s47
	s_mul_hi_u32 s2, s42, s46
	s_mul_i32 s50, s43, s46
	s_add_nc_u64 s[48:49], s[2:3], s[48:49]
	s_mul_hi_u32 s27, s43, s46
	s_mul_hi_u32 s51, s43, s47
	s_add_co_u32 s2, s48, s50
	s_add_co_ci_u32 s2, s49, s27
	s_mul_i32 s46, s43, s47
	s_add_co_ci_u32 s47, s51, 0
	s_delay_alu instid0(SALU_CYCLE_1) | instskip(NEXT) | instid1(SALU_CYCLE_1)
	s_add_nc_u64 s[46:47], s[2:3], s[46:47]
	s_add_co_u32 s42, s42, s46
	s_cselect_b32 s2, -1, 0
	s_delay_alu instid0(SALU_CYCLE_1) | instskip(SKIP_1) | instid1(SALU_CYCLE_1)
	s_cmp_lg_u32 s2, 0
	s_add_co_ci_u32 s43, s43, s47
	s_mul_u64 s[44:45], s[44:45], s[42:43]
	s_delay_alu instid0(SALU_CYCLE_1)
	s_mul_hi_u32 s47, s42, s45
	s_mul_i32 s46, s42, s45
	s_mul_hi_u32 s2, s42, s44
	s_mul_i32 s48, s43, s44
	s_add_nc_u64 s[46:47], s[2:3], s[46:47]
	s_mul_hi_u32 s27, s43, s44
	s_mul_hi_u32 s49, s43, s45
	s_add_co_u32 s2, s46, s48
	s_add_co_ci_u32 s2, s47, s27
	s_mul_i32 s44, s43, s45
	s_add_co_ci_u32 s45, s49, 0
	s_delay_alu instid0(SALU_CYCLE_1) | instskip(NEXT) | instid1(SALU_CYCLE_1)
	s_add_nc_u64 s[44:45], s[2:3], s[44:45]
	s_add_co_u32 s42, s42, s44
	s_cselect_b32 s2, -1, 0
	v_mul_hi_u32 v26, v14, s42
	s_cmp_lg_u32 s2, 0
	s_add_co_ci_u32 s2, s43, s45
	s_and_b64 s[44:45], s[42:43], s[20:21]
	v_mul_u64_e32 v[20:21], s[2:3], v[14:15]
	v_mul_u64_e32 v[12:13], s[44:45], v[22:23]
	;; [unrolled: 1-line block ×3, first 2 shown]
	s_delay_alu instid0(VALU_DEP_3) | instskip(NEXT) | instid1(VALU_DEP_1)
	v_add_nc_u64_e32 v[20:21], v[26:27], v[20:21]
	v_add_co_u32 v9, vcc_lo, v20, v12
	s_delay_alu instid0(VALU_DEP_2) | instskip(NEXT) | instid1(VALU_DEP_4)
	v_add_co_ci_u32_e32 v26, vcc_lo, v21, v13, vcc_lo
	v_add_co_ci_u32_e32 v25, vcc_lo, 0, v25, vcc_lo
	s_delay_alu instid0(VALU_DEP_1) | instskip(NEXT) | instid1(VALU_DEP_1)
	v_add_nc_u64_e32 v[12:13], v[26:27], v[24:25]
	v_mul_u64_e32 v[20:21], s[28:29], v[12:13]
	s_delay_alu instid0(VALU_DEP_1) | instskip(NEXT) | instid1(VALU_DEP_2)
	v_sub_nc_u32_e32 v9, v22, v21
	v_sub_co_u32 v11, vcc_lo, v14, v20
	s_delay_alu instid0(VALU_DEP_1) | instskip(NEXT) | instid1(VALU_DEP_3)
	v_sub_co_ci_u32_e64 v22, null, v22, v21, vcc_lo
	v_subrev_co_ci_u32_e64 v9, null, s29, v9, vcc_lo
	s_delay_alu instid0(VALU_DEP_3) | instskip(SKIP_1) | instid1(VALU_DEP_3)
	v_sub_co_u32 v14, s2, v11, s28
	v_add_nc_u64_e32 v[20:21], 1, v[12:13]
	v_subrev_co_ci_u32_e64 v9, null, 0, v9, s2
	s_delay_alu instid0(VALU_DEP_3) | instskip(SKIP_1) | instid1(VALU_DEP_3)
	v_cmp_le_u32_e32 vcc_lo, s28, v14
	v_cndmask_b32_e64 v14, 0, -1, vcc_lo
	v_cmp_le_u32_e32 vcc_lo, s29, v9
	v_cndmask_b32_e64 v15, 0, -1, vcc_lo
	;; [unrolled: 2-line block ×4, first 2 shown]
	v_cmp_eq_u32_e32 vcc_lo, s29, v9
	v_cndmask_b32_e32 v9, v15, v14, vcc_lo
	v_cmp_eq_u32_e32 vcc_lo, s29, v22
	v_add_nc_u64_e32 v[14:15], 2, v[12:13]
	v_cndmask_b32_e32 v11, v23, v11, vcc_lo
	s_delay_alu instid0(VALU_DEP_4) | instskip(NEXT) | instid1(VALU_DEP_2)
	v_cmp_ne_u32_e32 vcc_lo, 0, v9
	v_cmp_ne_u32_e64 s2, 0, v11
	s_delay_alu instid0(VALU_DEP_4) | instskip(NEXT) | instid1(VALU_DEP_1)
	v_dual_cndmask_b32 v9, v21, v15, vcc_lo :: v_dual_cndmask_b32 v11, v20, v14, vcc_lo
	v_dual_cndmask_b32 v9, v13, v9, s2 :: v_dual_cndmask_b32 v12, v12, v11, s2
	s_delay_alu instid0(VALU_DEP_1) | instskip(NEXT) | instid1(VALU_DEP_2)
	v_dual_mov_b32 v11, v10 :: v_dual_bitop2_b32 v13, v9, v10 bitop3:0x14
	v_xor_b32_e32 v12, v12, v10
	s_delay_alu instid0(VALU_DEP_1)
	v_sub_nc_u64_e32 v[10:11], v[12:13], v[10:11]
                                        ; implicit-def: $vgpr12_vgpr13
.LBB5_29:                               ;   in Loop: Header=BB5_27 Depth=2
	s_and_not1_saveexec_b32 s2, s41
	s_cbranch_execz .LBB5_31
; %bb.30:                               ;   in Loop: Header=BB5_27 Depth=2
	v_cvt_f32_u32_e32 v9, s12
	s_sub_co_i32 s26, 0, s12
	s_delay_alu instid0(VALU_DEP_1) | instskip(SKIP_1) | instid1(TRANS32_DEP_1)
	v_rcp_iflag_f32_e32 v9, v9
	v_nop
	v_mul_f32_e32 v9, 0x4f7ffffe, v9
	s_delay_alu instid0(VALU_DEP_1) | instskip(NEXT) | instid1(VALU_DEP_1)
	v_cvt_u32_f32_e32 v9, v9
	v_mul_lo_u32 v10, s26, v9
	s_delay_alu instid0(VALU_DEP_1) | instskip(NEXT) | instid1(VALU_DEP_1)
	v_mul_hi_u32 v10, v9, v10
	v_add_nc_u32_e32 v9, v9, v10
	s_delay_alu instid0(VALU_DEP_1) | instskip(NEXT) | instid1(VALU_DEP_1)
	v_mul_hi_u32 v9, v12, v9
	v_mul_lo_u32 v10, v9, s12
	s_delay_alu instid0(VALU_DEP_1) | instskip(NEXT) | instid1(VALU_DEP_1)
	v_dual_add_nc_u32 v11, 1, v9 :: v_dual_sub_nc_u32 v10, v12, v10
	v_subrev_nc_u32_e32 v12, s12, v10
	v_cmp_le_u32_e32 vcc_lo, s12, v10
	s_delay_alu instid0(VALU_DEP_2) | instskip(NEXT) | instid1(VALU_DEP_1)
	v_dual_cndmask_b32 v10, v10, v12 :: v_dual_cndmask_b32 v9, v9, v11
	v_cmp_le_u32_e32 vcc_lo, s12, v10
	s_delay_alu instid0(VALU_DEP_2) | instskip(NEXT) | instid1(VALU_DEP_1)
	v_add_nc_u32_e32 v11, 1, v9
	v_cndmask_b32_e32 v10, v9, v11, vcc_lo
	v_mov_b32_e32 v11, v1
.LBB5_31:                               ;   in Loop: Header=BB5_27 Depth=2
	s_or_b32 exec_lo, exec_lo, s2
	v_dual_mov_b32 v14, v1 :: v_dual_add_nc_u32 v9, 1, v0
	s_delay_alu instid0(VALU_DEP_1) | instskip(NEXT) | instid1(VALU_DEP_1)
	v_mad_nc_u64_u32 v[12:13], v9, s6, -1
	v_mad_u32 v13, v9, s7, v13
	s_delay_alu instid0(VALU_DEP_1) | instskip(NEXT) | instid1(VALU_DEP_1)
	v_or_b32_e32 v15, s13, v13
	v_cmp_ne_u64_e32 vcc_lo, 0, v[14:15]
                                        ; implicit-def: $vgpr14_vgpr15
	s_and_saveexec_b32 s2, vcc_lo
	s_delay_alu instid0(SALU_CYCLE_1)
	s_xor_b32 s41, exec_lo, s2
	s_cbranch_execnz .LBB5_34
; %bb.32:                               ;   in Loop: Header=BB5_27 Depth=2
	s_and_not1_saveexec_b32 s2, s41
	s_cbranch_execnz .LBB5_35
.LBB5_33:                               ;   in Loop: Header=BB5_27 Depth=2
	s_or_b32 exec_lo, exec_lo, s2
	s_delay_alu instid0(SALU_CYCLE_1)
	s_and_not1_b32 vcc_lo, exec_lo, s33
	s_cbranch_vccz .LBB5_36
	s_branch .LBB5_26
.LBB5_34:                               ;   in Loop: Header=BB5_27 Depth=2
	s_ashr_i32 s26, s13, 31
	v_dual_mov_b32 v21, v1 :: v_dual_ashrrev_i32 v14, 31, v13
	s_mov_b32 s27, s26
	v_dual_mov_b32 v25, v1 :: v_dual_mov_b32 v29, v1
	s_add_nc_u64 s[28:29], s[12:13], s[26:27]
	s_delay_alu instid0(VALU_DEP_2) | instskip(SKIP_1) | instid1(SALU_CYCLE_1)
	v_mov_b32_e32 v15, v14
	s_xor_b64 s[28:29], s[28:29], s[26:27]
	s_cvt_f32_u32 s2, s28
	s_cvt_f32_u32 s27, s29
	s_sub_nc_u64 s[44:45], 0, s[28:29]
	v_add_nc_u64_e32 v[12:13], v[12:13], v[14:15]
	s_delay_alu instid0(SALU_CYCLE_1) | instskip(NEXT) | instid1(SALU_CYCLE_3)
	s_fmamk_f32 s2, s27, 0x4f800000, s2
	v_s_rcp_f32 s2, s2
	s_delay_alu instid0(VALU_DEP_1) | instskip(NEXT) | instid1(VALU_DEP_2)
	v_xor_b32_e32 v20, v12, v14
	v_xor_b32_e32 v24, v13, v14
	;; [unrolled: 1-line block ×3, first 2 shown]
	s_delay_alu instid0(TRANS32_DEP_1) | instskip(NEXT) | instid1(SALU_CYCLE_3)
	s_mul_f32 s2, s2, 0x5f7ffffc
	s_mul_f32 s27, s2, 0x2f800000
	s_delay_alu instid0(SALU_CYCLE_3) | instskip(NEXT) | instid1(SALU_CYCLE_3)
	s_trunc_f32 s27, s27
	s_fmamk_f32 s2, s27, 0xcf800000, s2
	s_cvt_u32_f32 s43, s27
	s_delay_alu instid0(SALU_CYCLE_2) | instskip(NEXT) | instid1(SALU_CYCLE_3)
	s_cvt_u32_f32 s42, s2
	s_mul_u64 s[46:47], s[44:45], s[42:43]
	s_delay_alu instid0(SALU_CYCLE_1)
	s_mul_hi_u32 s49, s42, s47
	s_mul_i32 s48, s42, s47
	s_mul_hi_u32 s2, s42, s46
	s_mul_i32 s50, s43, s46
	s_add_nc_u64 s[48:49], s[2:3], s[48:49]
	s_mul_hi_u32 s27, s43, s46
	s_mul_hi_u32 s51, s43, s47
	s_add_co_u32 s2, s48, s50
	s_add_co_ci_u32 s2, s49, s27
	s_mul_i32 s46, s43, s47
	s_add_co_ci_u32 s47, s51, 0
	s_delay_alu instid0(SALU_CYCLE_1) | instskip(NEXT) | instid1(SALU_CYCLE_1)
	s_add_nc_u64 s[46:47], s[2:3], s[46:47]
	s_add_co_u32 s42, s42, s46
	s_cselect_b32 s2, -1, 0
	s_delay_alu instid0(SALU_CYCLE_1) | instskip(SKIP_1) | instid1(SALU_CYCLE_1)
	s_cmp_lg_u32 s2, 0
	s_add_co_ci_u32 s43, s43, s47
	s_mul_u64 s[44:45], s[44:45], s[42:43]
	s_delay_alu instid0(SALU_CYCLE_1)
	s_mul_hi_u32 s47, s42, s45
	s_mul_i32 s46, s42, s45
	s_mul_hi_u32 s2, s42, s44
	s_mul_i32 s48, s43, s44
	s_add_nc_u64 s[46:47], s[2:3], s[46:47]
	s_mul_hi_u32 s27, s43, s44
	s_mul_hi_u32 s49, s43, s45
	s_add_co_u32 s2, s46, s48
	s_add_co_ci_u32 s2, s47, s27
	s_mul_i32 s44, s43, s45
	s_add_co_ci_u32 s45, s49, 0
	s_delay_alu instid0(SALU_CYCLE_1) | instskip(NEXT) | instid1(SALU_CYCLE_1)
	s_add_nc_u64 s[44:45], s[2:3], s[44:45]
	s_add_co_u32 s42, s42, s44
	s_cselect_b32 s2, -1, 0
	v_mul_hi_u32 v28, v20, s42
	s_cmp_lg_u32 s2, 0
	s_add_co_ci_u32 s2, s43, s45
	s_and_b64 s[44:45], s[42:43], s[20:21]
	v_mul_u64_e32 v[22:23], s[2:3], v[20:21]
	v_mul_u64_e32 v[12:13], s[44:45], v[24:25]
	;; [unrolled: 1-line block ×3, first 2 shown]
	s_delay_alu instid0(VALU_DEP_3) | instskip(NEXT) | instid1(VALU_DEP_1)
	v_add_nc_u64_e32 v[22:23], v[28:29], v[22:23]
	v_add_co_u32 v9, vcc_lo, v22, v12
	s_delay_alu instid0(VALU_DEP_2) | instskip(NEXT) | instid1(VALU_DEP_4)
	v_add_co_ci_u32_e32 v28, vcc_lo, v23, v13, vcc_lo
	v_add_co_ci_u32_e32 v27, vcc_lo, 0, v27, vcc_lo
	s_delay_alu instid0(VALU_DEP_1) | instskip(NEXT) | instid1(VALU_DEP_1)
	v_add_nc_u64_e32 v[12:13], v[28:29], v[26:27]
	v_mul_u64_e32 v[22:23], s[28:29], v[12:13]
	s_delay_alu instid0(VALU_DEP_1) | instskip(NEXT) | instid1(VALU_DEP_2)
	v_sub_nc_u32_e32 v9, v24, v23
	v_sub_co_u32 v15, vcc_lo, v20, v22
	s_delay_alu instid0(VALU_DEP_1) | instskip(NEXT) | instid1(VALU_DEP_3)
	v_sub_co_ci_u32_e64 v24, null, v24, v23, vcc_lo
	v_subrev_co_ci_u32_e64 v9, null, s29, v9, vcc_lo
	s_delay_alu instid0(VALU_DEP_3) | instskip(SKIP_1) | instid1(VALU_DEP_3)
	v_sub_co_u32 v20, s2, v15, s28
	v_add_nc_u64_e32 v[22:23], 1, v[12:13]
	v_subrev_co_ci_u32_e64 v9, null, 0, v9, s2
	s_delay_alu instid0(VALU_DEP_3) | instskip(SKIP_1) | instid1(VALU_DEP_3)
	v_cmp_le_u32_e32 vcc_lo, s28, v20
	v_cndmask_b32_e64 v20, 0, -1, vcc_lo
	v_cmp_le_u32_e32 vcc_lo, s29, v9
	v_cndmask_b32_e64 v21, 0, -1, vcc_lo
	;; [unrolled: 2-line block ×4, first 2 shown]
	v_cmp_eq_u32_e32 vcc_lo, s29, v9
	v_cndmask_b32_e32 v9, v21, v20, vcc_lo
	v_cmp_eq_u32_e32 vcc_lo, s29, v24
	v_add_nc_u64_e32 v[20:21], 2, v[12:13]
	v_cndmask_b32_e32 v15, v25, v15, vcc_lo
	s_delay_alu instid0(VALU_DEP_4) | instskip(NEXT) | instid1(VALU_DEP_2)
	v_cmp_ne_u32_e32 vcc_lo, 0, v9
	v_cmp_ne_u32_e64 s2, 0, v15
	s_delay_alu instid0(VALU_DEP_4) | instskip(NEXT) | instid1(VALU_DEP_1)
	v_dual_cndmask_b32 v9, v23, v21, vcc_lo :: v_dual_cndmask_b32 v15, v22, v20, vcc_lo
	v_dual_cndmask_b32 v9, v13, v9, s2 :: v_dual_cndmask_b32 v12, v12, v15, s2
	s_delay_alu instid0(VALU_DEP_1) | instskip(NEXT) | instid1(VALU_DEP_2)
	v_dual_mov_b32 v15, v14 :: v_dual_bitop2_b32 v13, v9, v14 bitop3:0x14
	v_xor_b32_e32 v12, v12, v14
	s_delay_alu instid0(VALU_DEP_1)
	v_sub_nc_u64_e32 v[14:15], v[12:13], v[14:15]
                                        ; implicit-def: $vgpr12_vgpr13
	s_and_not1_saveexec_b32 s2, s41
	s_cbranch_execz .LBB5_33
.LBB5_35:                               ;   in Loop: Header=BB5_27 Depth=2
	v_cvt_f32_u32_e32 v9, s12
	s_sub_co_i32 s26, 0, s12
	s_delay_alu instid0(VALU_DEP_1) | instskip(SKIP_1) | instid1(TRANS32_DEP_1)
	v_rcp_iflag_f32_e32 v9, v9
	v_nop
	v_mul_f32_e32 v9, 0x4f7ffffe, v9
	s_delay_alu instid0(VALU_DEP_1) | instskip(NEXT) | instid1(VALU_DEP_1)
	v_cvt_u32_f32_e32 v9, v9
	v_mul_lo_u32 v13, s26, v9
	s_delay_alu instid0(VALU_DEP_1) | instskip(NEXT) | instid1(VALU_DEP_1)
	v_mul_hi_u32 v13, v9, v13
	v_add_nc_u32_e32 v9, v9, v13
	s_delay_alu instid0(VALU_DEP_1) | instskip(NEXT) | instid1(VALU_DEP_1)
	v_mul_hi_u32 v9, v12, v9
	v_mul_lo_u32 v13, v9, s12
	s_delay_alu instid0(VALU_DEP_1) | instskip(SKIP_1) | instid1(VALU_DEP_2)
	v_sub_nc_u32_e32 v12, v12, v13
	v_add_nc_u32_e32 v13, 1, v9
	v_subrev_nc_u32_e32 v14, s12, v12
	v_cmp_le_u32_e32 vcc_lo, s12, v12
	s_delay_alu instid0(VALU_DEP_2) | instskip(NEXT) | instid1(VALU_DEP_1)
	v_dual_cndmask_b32 v12, v12, v14 :: v_dual_cndmask_b32 v9, v9, v13
	v_cmp_le_u32_e32 vcc_lo, s12, v12
	s_delay_alu instid0(VALU_DEP_2) | instskip(NEXT) | instid1(VALU_DEP_1)
	v_add_nc_u32_e32 v13, 1, v9
	v_cndmask_b32_e32 v14, v9, v13, vcc_lo
	s_or_b32 exec_lo, exec_lo, s2
	s_delay_alu instid0(SALU_CYCLE_1)
	s_and_not1_b32 vcc_lo, exec_lo, s33
	s_cbranch_vccnz .LBB5_26
.LBB5_36:                               ;   in Loop: Header=BB5_27 Depth=2
	v_lshl_add_u64 v[12:13], v[0:1], 2, v[4:5]
	s_mov_b32 s28, 0
	global_load_b32 v9, v[12:13], off
	s_wait_loadcnt 0x0
	s_wait_xcnt 0x0
	v_div_scale_f32 v12, null, s38, s38, v9
	v_div_scale_f32 v20, vcc_lo, v9, s38, v9
	s_delay_alu instid0(VALU_DEP_2) | instskip(SKIP_1) | instid1(TRANS32_DEP_1)
	v_rcp_f32_e32 v13, v12
	v_nop
	v_fma_f32 v15, -v12, v13, 1.0
	s_delay_alu instid0(VALU_DEP_1) | instskip(NEXT) | instid1(VALU_DEP_1)
	v_fmac_f32_e32 v13, v15, v13
	v_mul_f32_e32 v15, v20, v13
	s_delay_alu instid0(VALU_DEP_1) | instskip(NEXT) | instid1(VALU_DEP_1)
	v_fma_f32 v21, -v12, v15, v20
	v_fmac_f32_e32 v15, v21, v13
	s_delay_alu instid0(VALU_DEP_1) | instskip(NEXT) | instid1(VALU_DEP_1)
	v_fma_f32 v12, -v12, v15, v20
	v_div_fmas_f32 v12, v12, v13, v15
	s_delay_alu instid0(VALU_DEP_1) | instskip(NEXT) | instid1(VALU_DEP_1)
	v_div_fixup_f32 v13, v12, s38, v9
	v_div_scale_f32 v12, null, v19, v19, v13
	v_div_scale_f32 v20, vcc_lo, v13, v19, v13
	s_delay_alu instid0(VALU_DEP_2) | instskip(SKIP_1) | instid1(TRANS32_DEP_1)
	v_rcp_f32_e32 v15, v12
	v_nop
	v_fma_f32 v9, -v12, v15, 1.0
	s_delay_alu instid0(VALU_DEP_1) | instskip(SKIP_1) | instid1(VALU_DEP_2)
	v_fmac_f32_e32 v15, v9, v15
	v_mad_nc_i64_i32 v[8:9], v8, s6, v[10:11]
	v_mul_f32_e32 v21, v20, v15
	s_delay_alu instid0(VALU_DEP_1) | instskip(NEXT) | instid1(VALU_DEP_1)
	v_fma_f32 v9, -v12, v21, v20
	v_dual_mov_b32 v11, v8 :: v_dual_fmac_f32 v21, v9, v15
	s_delay_alu instid0(VALU_DEP_1) | instskip(NEXT) | instid1(VALU_DEP_1)
	v_dual_sub_nc_u32 v9, v14, v8 :: v_dual_fma_f32 v10, -v12, v21, v20
	v_add_nc_u32_e32 v12, 1, v9
	s_delay_alu instid0(VALU_DEP_2) | instskip(NEXT) | instid1(VALU_DEP_2)
	v_div_fmas_f32 v9, v10, v15, v21
	v_cvt_f32_i32_e32 v14, v12
	s_delay_alu instid0(VALU_DEP_2) | instskip(NEXT) | instid1(VALU_DEP_1)
	v_div_fixup_f32 v13, v9, v19, v13
	v_div_scale_f32 v9, null, v14, v14, v13
	v_div_scale_f32 v20, vcc_lo, v13, v14, v13
	s_delay_alu instid0(VALU_DEP_2) | instskip(SKIP_1) | instid1(TRANS32_DEP_1)
	v_rcp_f32_e32 v15, v9
	v_nop
	v_fma_f32 v10, -v9, v15, 1.0
	s_delay_alu instid0(VALU_DEP_1) | instskip(NEXT) | instid1(VALU_DEP_1)
	v_fmac_f32_e32 v15, v10, v15
	v_mul_f32_e32 v21, v20, v15
	s_delay_alu instid0(VALU_DEP_1) | instskip(NEXT) | instid1(VALU_DEP_1)
	v_fma_f32 v10, -v9, v21, v20
	v_dual_fmac_f32 v21, v10, v15 :: v_dual_mov_b32 v10, v1
	s_delay_alu instid0(VALU_DEP_1) | instskip(NEXT) | instid1(VALU_DEP_2)
	v_fma_f32 v20, -v9, v21, v20
	v_ashrrev_i64 v[8:9], 30, v[10:11]
	s_delay_alu instid0(VALU_DEP_2) | instskip(SKIP_1) | instid1(VALU_DEP_3)
	v_div_fmas_f32 v10, v20, v15, v21
	v_cmp_lt_i32_e32 vcc_lo, 0, v12
	v_add_nc_u64_e32 v[8:9], v[6:7], v[8:9]
	s_delay_alu instid0(VALU_DEP_3)
	v_div_fixup_f32 v13, v10, v14, v13
	s_branch .LBB5_38
.LBB5_37:                               ;   in Loop: Header=BB5_38 Depth=3
	s_or_b32 exec_lo, exec_lo, s29
	s_delay_alu instid0(VALU_DEP_1) | instskip(SKIP_1) | instid1(SALU_CYCLE_1)
	v_add_nc_u64_e32 v[8:9], s[22:23], v[8:9]
	s_add_co_i32 s28, s28, 1
	s_cmp_lt_i32 s28, s30
	s_cbranch_scc0 .LBB5_26
.LBB5_38:                               ;   Parent Loop BB5_12 Depth=1
                                        ;     Parent Loop BB5_27 Depth=2
                                        ; =>    This Loop Header: Depth=3
                                        ;         Child Loop BB5_41 Depth 4
                                        ;           Child Loop BB5_43 Depth 5
	s_and_saveexec_b32 s29, s1
	s_cbranch_execz .LBB5_37
; %bb.39:                               ;   in Loop: Header=BB5_38 Depth=3
	s_mov_b32 s41, 0
	s_mov_b32 s26, 0
	;; [unrolled: 1-line block ×3, first 2 shown]
	s_branch .LBB5_41
.LBB5_40:                               ;   in Loop: Header=BB5_41 Depth=4
	s_or_b32 exec_lo, exec_lo, s43
	s_add_co_i32 s42, s42, 1
	s_add_co_i32 s26, s26, s6
	v_cmp_ge_i32_e64 s2, s42, v3
	s_or_b32 s41, s2, s41
	s_delay_alu instid0(SALU_CYCLE_1)
	s_and_not1_b32 exec_lo, exec_lo, s41
	s_cbranch_execz .LBB5_37
.LBB5_41:                               ;   Parent Loop BB5_12 Depth=1
                                        ;     Parent Loop BB5_27 Depth=2
                                        ;       Parent Loop BB5_38 Depth=3
                                        ; =>      This Loop Header: Depth=4
                                        ;           Child Loop BB5_43 Depth 5
	s_and_saveexec_b32 s43, vcc_lo
	s_cbranch_execz .LBB5_40
; %bb.42:                               ;   in Loop: Header=BB5_41 Depth=4
	s_ashr_i32 s27, s26, 31
	s_mov_b32 s44, 0
	v_lshl_add_u64 v[10:11], s[26:27], 2, v[8:9]
	s_mov_b32 s27, 0
.LBB5_43:                               ;   Parent Loop BB5_12 Depth=1
                                        ;     Parent Loop BB5_27 Depth=2
                                        ;       Parent Loop BB5_38 Depth=3
                                        ;         Parent Loop BB5_41 Depth=4
                                        ; =>        This Inner Loop Header: Depth=5
	global_atomic_add_f32 v[10:11], v13, off scope:SCOPE_DEV
	s_add_co_i32 s44, s44, 1
	s_wait_xcnt 0x0
	v_add_nc_u64_e32 v[10:11], 4, v[10:11]
	v_cmp_ge_i32_e64 s2, s44, v12
	s_or_b32 s27, s2, s27
	s_delay_alu instid0(SALU_CYCLE_1)
	s_and_not1_b32 exec_lo, exec_lo, s27
	s_cbranch_execnz .LBB5_43
	s_branch .LBB5_40
.LBB5_44:
	s_endpgm
.LBB5_45:
                                        ; implicit-def: $sgpr16_sgpr17
	s_branch .LBB5_2
.LBB5_46:
                                        ; implicit-def: $sgpr12_sgpr13
	s_branch .LBB5_5
.LBB5_47:
                                        ; implicit-def: $sgpr20_sgpr21
	s_load_b32 s17, s[0:1], 0x3c
	s_branch .LBB5_8
	.section	.rodata,"a",@progbits
	.p2align	6, 0x0
	.amdhsa_kernel _ZN2at6native12_GLOBAL__N_130atomicadaptiveaveragegradinputIfEEvPT_PKS3_iiiiiil
		.amdhsa_group_segment_fixed_size 0
		.amdhsa_private_segment_fixed_size 0
		.amdhsa_kernarg_size 304
		.amdhsa_user_sgpr_count 2
		.amdhsa_user_sgpr_dispatch_ptr 0
		.amdhsa_user_sgpr_queue_ptr 0
		.amdhsa_user_sgpr_kernarg_segment_ptr 1
		.amdhsa_user_sgpr_dispatch_id 0
		.amdhsa_user_sgpr_kernarg_preload_length 0
		.amdhsa_user_sgpr_kernarg_preload_offset 0
		.amdhsa_user_sgpr_private_segment_size 0
		.amdhsa_wavefront_size32 1
		.amdhsa_uses_dynamic_stack 0
		.amdhsa_enable_private_segment 0
		.amdhsa_system_sgpr_workgroup_id_x 1
		.amdhsa_system_sgpr_workgroup_id_y 1
		.amdhsa_system_sgpr_workgroup_id_z 0
		.amdhsa_system_sgpr_workgroup_info 0
		.amdhsa_system_vgpr_workitem_id 1
		.amdhsa_next_free_vgpr 30
		.amdhsa_next_free_sgpr 52
		.amdhsa_named_barrier_count 0
		.amdhsa_reserve_vcc 1
		.amdhsa_float_round_mode_32 0
		.amdhsa_float_round_mode_16_64 0
		.amdhsa_float_denorm_mode_32 3
		.amdhsa_float_denorm_mode_16_64 3
		.amdhsa_fp16_overflow 0
		.amdhsa_memory_ordered 1
		.amdhsa_forward_progress 1
		.amdhsa_inst_pref_size 53
		.amdhsa_round_robin_scheduling 0
		.amdhsa_exception_fp_ieee_invalid_op 0
		.amdhsa_exception_fp_denorm_src 0
		.amdhsa_exception_fp_ieee_div_zero 0
		.amdhsa_exception_fp_ieee_overflow 0
		.amdhsa_exception_fp_ieee_underflow 0
		.amdhsa_exception_fp_ieee_inexact 0
		.amdhsa_exception_int_div_zero 0
	.end_amdhsa_kernel
	.section	.text._ZN2at6native12_GLOBAL__N_130atomicadaptiveaveragegradinputIfEEvPT_PKS3_iiiiiil,"axG",@progbits,_ZN2at6native12_GLOBAL__N_130atomicadaptiveaveragegradinputIfEEvPT_PKS3_iiiiiil,comdat
.Lfunc_end5:
	.size	_ZN2at6native12_GLOBAL__N_130atomicadaptiveaveragegradinputIfEEvPT_PKS3_iiiiiil, .Lfunc_end5-_ZN2at6native12_GLOBAL__N_130atomicadaptiveaveragegradinputIfEEvPT_PKS3_iiiiiil
                                        ; -- End function
	.set _ZN2at6native12_GLOBAL__N_130atomicadaptiveaveragegradinputIfEEvPT_PKS3_iiiiiil.num_vgpr, 30
	.set _ZN2at6native12_GLOBAL__N_130atomicadaptiveaveragegradinputIfEEvPT_PKS3_iiiiiil.num_agpr, 0
	.set _ZN2at6native12_GLOBAL__N_130atomicadaptiveaveragegradinputIfEEvPT_PKS3_iiiiiil.numbered_sgpr, 52
	.set _ZN2at6native12_GLOBAL__N_130atomicadaptiveaveragegradinputIfEEvPT_PKS3_iiiiiil.num_named_barrier, 0
	.set _ZN2at6native12_GLOBAL__N_130atomicadaptiveaveragegradinputIfEEvPT_PKS3_iiiiiil.private_seg_size, 0
	.set _ZN2at6native12_GLOBAL__N_130atomicadaptiveaveragegradinputIfEEvPT_PKS3_iiiiiil.uses_vcc, 1
	.set _ZN2at6native12_GLOBAL__N_130atomicadaptiveaveragegradinputIfEEvPT_PKS3_iiiiiil.uses_flat_scratch, 0
	.set _ZN2at6native12_GLOBAL__N_130atomicadaptiveaveragegradinputIfEEvPT_PKS3_iiiiiil.has_dyn_sized_stack, 0
	.set _ZN2at6native12_GLOBAL__N_130atomicadaptiveaveragegradinputIfEEvPT_PKS3_iiiiiil.has_recursion, 0
	.set _ZN2at6native12_GLOBAL__N_130atomicadaptiveaveragegradinputIfEEvPT_PKS3_iiiiiil.has_indirect_call, 0
	.section	.AMDGPU.csdata,"",@progbits
; Kernel info:
; codeLenInByte = 6720
; TotalNumSgprs: 54
; NumVgprs: 30
; ScratchSize: 0
; MemoryBound: 0
; FloatMode: 240
; IeeeMode: 1
; LDSByteSize: 0 bytes/workgroup (compile time only)
; SGPRBlocks: 0
; VGPRBlocks: 1
; NumSGPRsForWavesPerEU: 54
; NumVGPRsForWavesPerEU: 30
; NamedBarCnt: 0
; Occupancy: 16
; WaveLimiterHint : 0
; COMPUTE_PGM_RSRC2:SCRATCH_EN: 0
; COMPUTE_PGM_RSRC2:USER_SGPR: 2
; COMPUTE_PGM_RSRC2:TRAP_HANDLER: 0
; COMPUTE_PGM_RSRC2:TGID_X_EN: 1
; COMPUTE_PGM_RSRC2:TGID_Y_EN: 1
; COMPUTE_PGM_RSRC2:TGID_Z_EN: 0
; COMPUTE_PGM_RSRC2:TIDIG_COMP_CNT: 1
	.section	.text._ZN2at6native12_GLOBAL__N_130atomicadaptiveaveragegradinputIN3c104HalfEEEvPT_PKS5_iiiiiil,"axG",@progbits,_ZN2at6native12_GLOBAL__N_130atomicadaptiveaveragegradinputIN3c104HalfEEEvPT_PKS5_iiiiiil,comdat
	.globl	_ZN2at6native12_GLOBAL__N_130atomicadaptiveaveragegradinputIN3c104HalfEEEvPT_PKS5_iiiiiil ; -- Begin function _ZN2at6native12_GLOBAL__N_130atomicadaptiveaveragegradinputIN3c104HalfEEEvPT_PKS5_iiiiiil
	.p2align	8
	.type	_ZN2at6native12_GLOBAL__N_130atomicadaptiveaveragegradinputIN3c104HalfEEEvPT_PKS5_iiiiiil,@function
_ZN2at6native12_GLOBAL__N_130atomicadaptiveaveragegradinputIN3c104HalfEEEvPT_PKS5_iiiiiil: ; @_ZN2at6native12_GLOBAL__N_130atomicadaptiveaveragegradinputIN3c104HalfEEEvPT_PKS5_iiiiiil
; %bb.0:
	s_load_b256 s[4:11], s[0:1], 0x10
	s_bfe_u32 s2, ttmp6, 0x4000c
	s_and_b32 s3, ttmp6, 15
	s_add_co_i32 s2, s2, 1
	s_getreg_b32 s26, hwreg(HW_REG_IB_STS2, 6, 4)
	s_mul_i32 s2, ttmp9, s2
	s_mov_b32 s15, 0
	s_add_co_i32 s3, s3, s2
	s_cmp_eq_u32 s26, 0
	s_cselect_b32 s14, ttmp9, s3
	s_wait_kmcnt 0x0
	s_add_nc_u64 s[2:3], s[10:11], s[14:15]
	s_ashr_i32 s11, s7, 31
	s_mov_b32 s10, s7
	s_delay_alu instid0(SALU_CYCLE_1) | instskip(NEXT) | instid1(SALU_CYCLE_1)
	s_or_b64 s[12:13], s[2:3], s[10:11]
	s_and_b64 s[12:13], s[12:13], 0xffffffff00000000
	s_delay_alu instid0(SALU_CYCLE_1)
	s_cmp_lg_u64 s[12:13], 0
	s_cbranch_scc0 .LBB6_51
; %bb.1:
	s_ashr_i32 s12, s11, 31
	s_delay_alu instid0(SALU_CYCLE_1) | instskip(NEXT) | instid1(SALU_CYCLE_1)
	s_mov_b32 s13, s12
	s_add_nc_u64 s[16:17], s[10:11], s[12:13]
	s_delay_alu instid0(SALU_CYCLE_1) | instskip(NEXT) | instid1(SALU_CYCLE_1)
	s_xor_b64 s[16:17], s[16:17], s[12:13]
	s_cvt_f32_u32 s7, s16
	s_cvt_f32_u32 s14, s17
	s_sub_nc_u64 s[20:21], 0, s[16:17]
	s_delay_alu instid0(SALU_CYCLE_2) | instskip(NEXT) | instid1(SALU_CYCLE_3)
	s_fmamk_f32 s7, s14, 0x4f800000, s7
	v_s_rcp_f32 s7, s7
	s_delay_alu instid0(TRANS32_DEP_1) | instskip(NEXT) | instid1(SALU_CYCLE_3)
	s_mul_f32 s7, s7, 0x5f7ffffc
	s_mul_f32 s14, s7, 0x2f800000
	s_delay_alu instid0(SALU_CYCLE_3) | instskip(NEXT) | instid1(SALU_CYCLE_3)
	s_trunc_f32 s14, s14
	s_fmamk_f32 s7, s14, 0xcf800000, s7
	s_cvt_u32_f32 s19, s14
	s_delay_alu instid0(SALU_CYCLE_2) | instskip(NEXT) | instid1(SALU_CYCLE_3)
	s_cvt_u32_f32 s18, s7
	s_mul_u64 s[22:23], s[20:21], s[18:19]
	s_delay_alu instid0(SALU_CYCLE_1)
	s_mul_hi_u32 s25, s18, s23
	s_mul_i32 s24, s18, s23
	s_mul_hi_u32 s14, s18, s22
	s_mul_i32 s27, s19, s22
	s_add_nc_u64 s[24:25], s[14:15], s[24:25]
	s_mul_hi_u32 s7, s19, s22
	s_mul_hi_u32 s28, s19, s23
	s_add_co_u32 s14, s24, s27
	s_add_co_ci_u32 s14, s25, s7
	s_mul_i32 s22, s19, s23
	s_add_co_ci_u32 s23, s28, 0
	s_delay_alu instid0(SALU_CYCLE_1) | instskip(NEXT) | instid1(SALU_CYCLE_1)
	s_add_nc_u64 s[22:23], s[14:15], s[22:23]
	s_add_co_u32 s18, s18, s22
	s_cselect_b32 s7, -1, 0
	s_delay_alu instid0(SALU_CYCLE_1) | instskip(SKIP_1) | instid1(SALU_CYCLE_1)
	s_cmp_lg_u32 s7, 0
	s_add_co_ci_u32 s19, s19, s23
	s_mul_u64 s[20:21], s[20:21], s[18:19]
	s_delay_alu instid0(SALU_CYCLE_1)
	s_mul_hi_u32 s23, s18, s21
	s_mul_i32 s22, s18, s21
	s_mul_hi_u32 s14, s18, s20
	s_mul_i32 s24, s19, s20
	s_add_nc_u64 s[22:23], s[14:15], s[22:23]
	s_mul_hi_u32 s7, s19, s20
	s_mul_hi_u32 s25, s19, s21
	s_add_co_u32 s14, s22, s24
	s_add_co_ci_u32 s14, s23, s7
	s_mul_i32 s20, s19, s21
	s_add_co_ci_u32 s21, s25, 0
	s_delay_alu instid0(SALU_CYCLE_1) | instskip(NEXT) | instid1(SALU_CYCLE_1)
	s_add_nc_u64 s[20:21], s[14:15], s[20:21]
	s_add_co_u32 s7, s18, s20
	s_cselect_b32 s14, -1, 0
	s_delay_alu instid0(SALU_CYCLE_1) | instskip(SKIP_2) | instid1(SALU_CYCLE_1)
	s_cmp_lg_u32 s14, 0
	s_add_co_ci_u32 s24, s19, s21
	s_ashr_i32 s18, s3, 31
	s_mov_b32 s19, s18
	s_delay_alu instid0(SALU_CYCLE_1) | instskip(NEXT) | instid1(SALU_CYCLE_1)
	s_add_nc_u64 s[20:21], s[2:3], s[18:19]
	s_xor_b64 s[20:21], s[20:21], s[18:19]
	s_delay_alu instid0(SALU_CYCLE_1)
	s_mul_hi_u32 s23, s20, s24
	s_mul_i32 s22, s20, s24
	s_mul_hi_u32 s14, s20, s7
	s_mul_hi_u32 s27, s21, s7
	s_mul_i32 s7, s21, s7
	s_add_nc_u64 s[22:23], s[14:15], s[22:23]
	s_mul_hi_u32 s25, s21, s24
	s_add_co_u32 s7, s22, s7
	s_add_co_ci_u32 s14, s23, s27
	s_mul_i32 s24, s21, s24
	s_add_co_ci_u32 s25, s25, 0
	s_delay_alu instid0(SALU_CYCLE_1) | instskip(NEXT) | instid1(SALU_CYCLE_1)
	s_add_nc_u64 s[22:23], s[14:15], s[24:25]
	s_and_b64 s[24:25], s[22:23], 0xffffffff00000000
	s_delay_alu instid0(SALU_CYCLE_1) | instskip(NEXT) | instid1(SALU_CYCLE_1)
	s_or_b32 s24, s24, s22
	s_mul_u64 s[22:23], s[16:17], s[24:25]
	s_add_nc_u64 s[28:29], s[24:25], 1
	s_sub_co_u32 s7, s20, s22
	s_cselect_b32 s14, -1, 0
	s_sub_co_i32 s20, s21, s23
	s_cmp_lg_u32 s14, 0
	s_add_nc_u64 s[30:31], s[24:25], 2
	s_sub_co_ci_u32 s20, s20, s17
	s_sub_co_u32 s22, s7, s16
	s_cselect_b32 s27, -1, 0
	s_delay_alu instid0(SALU_CYCLE_1) | instskip(SKIP_1) | instid1(SALU_CYCLE_1)
	s_cmp_lg_u32 s27, 0
	s_sub_co_ci_u32 s20, s20, 0
	s_cmp_ge_u32 s20, s17
	s_cselect_b32 s27, -1, 0
	s_cmp_ge_u32 s22, s16
	s_cselect_b32 s22, -1, 0
	s_cmp_eq_u32 s20, s17
	s_cselect_b32 s20, s22, s27
	s_delay_alu instid0(SALU_CYCLE_1) | instskip(SKIP_4) | instid1(SALU_CYCLE_1)
	s_cmp_lg_u32 s20, 0
	s_cselect_b32 s20, s30, s28
	s_cselect_b32 s22, s31, s29
	s_cmp_lg_u32 s14, 0
	s_sub_co_ci_u32 s14, s21, s23
	s_cmp_ge_u32 s14, s17
	s_cselect_b32 s21, -1, 0
	s_cmp_ge_u32 s7, s16
	s_cselect_b32 s7, -1, 0
	s_cmp_eq_u32 s14, s17
	s_cselect_b32 s7, s7, s21
	s_delay_alu instid0(SALU_CYCLE_1) | instskip(SKIP_3) | instid1(SALU_CYCLE_1)
	s_cmp_lg_u32 s7, 0
	s_cselect_b32 s17, s22, s25
	s_cselect_b32 s16, s20, s24
	s_xor_b64 s[12:13], s[18:19], s[12:13]
	s_xor_b64 s[16:17], s[16:17], s[12:13]
	s_delay_alu instid0(SALU_CYCLE_1)
	s_sub_nc_u64 s[12:13], s[16:17], s[12:13]
	s_and_not1_b32 vcc_lo, exec_lo, s15
	s_cbranch_vccnz .LBB6_3
.LBB6_2:
	v_cvt_f32_u32_e32 v1, s10
	s_sub_co_i32 s12, 0, s10
	s_delay_alu instid0(VALU_DEP_1) | instskip(SKIP_1) | instid1(TRANS32_DEP_1)
	v_rcp_iflag_f32_e32 v1, v1
	v_nop
	v_mul_f32_e32 v1, 0x4f7ffffe, v1
	s_delay_alu instid0(VALU_DEP_1) | instskip(NEXT) | instid1(VALU_DEP_1)
	v_cvt_u32_f32_e32 v1, v1
	v_readfirstlane_b32 s7, v1
	s_mul_i32 s12, s12, s7
	s_delay_alu instid0(SALU_CYCLE_1) | instskip(NEXT) | instid1(SALU_CYCLE_1)
	s_mul_hi_u32 s12, s7, s12
	s_add_co_i32 s7, s7, s12
	s_delay_alu instid0(SALU_CYCLE_1) | instskip(NEXT) | instid1(SALU_CYCLE_1)
	s_mul_hi_u32 s7, s2, s7
	s_mul_i32 s12, s7, s10
	s_add_co_i32 s13, s7, 1
	s_sub_co_i32 s12, s2, s12
	s_delay_alu instid0(SALU_CYCLE_1)
	s_sub_co_i32 s14, s12, s10
	s_cmp_ge_u32 s12, s10
	s_cselect_b32 s7, s13, s7
	s_cselect_b32 s12, s14, s12
	s_add_co_i32 s14, s7, 1
	s_cmp_ge_u32 s12, s10
	s_mov_b32 s13, 0
	s_cselect_b32 s12, s14, s7
.LBB6_3:
	s_abs_i32 s7, s10
	s_mov_b32 s23, 0
	s_cvt_f32_u32 s14, s7
	s_sub_co_i32 s17, 0, s7
	s_delay_alu instid0(SALU_CYCLE_2) | instskip(SKIP_1) | instid1(TRANS32_DEP_1)
	v_rcp_iflag_f32_e32 v1, s14
	v_nop
	v_readfirstlane_b32 s14, v1
	s_mul_f32 s14, s14, 0x4f7ffffe
	s_delay_alu instid0(SALU_CYCLE_3) | instskip(SKIP_1) | instid1(SALU_CYCLE_1)
	s_cvt_u32_f32 s16, s14
	s_mul_u64 s[14:15], s[12:13], s[10:11]
	s_sub_nc_u64 s[18:19], s[2:3], s[14:15]
	s_delay_alu instid0(SALU_CYCLE_1) | instskip(SKIP_4) | instid1(SALU_CYCLE_1)
	s_mul_i32 s17, s17, s16
	s_abs_i32 s14, s18
	s_mul_hi_u32 s13, s16, s17
	s_ashr_i32 s15, s4, 31
	s_add_co_i32 s16, s16, s13
	s_mul_hi_u32 s13, s14, s16
	s_xor_b32 s16, s18, s10
	s_mul_i32 s17, s13, s7
	s_ashr_i32 s16, s16, 31
	s_sub_co_i32 s14, s14, s17
	s_add_co_i32 s17, s13, 1
	s_sub_co_i32 s20, s14, s7
	s_cmp_ge_u32 s14, s7
	s_cselect_b32 s13, s17, s13
	s_cselect_b32 s14, s20, s14
	s_add_co_i32 s17, s13, 1
	s_cmp_ge_u32 s14, s7
	s_mov_b32 s14, s4
	s_cselect_b32 s7, s17, s13
	s_delay_alu instid0(SALU_CYCLE_1) | instskip(NEXT) | instid1(SALU_CYCLE_1)
	s_xor_b32 s7, s7, s16
	s_sub_co_i32 s7, s7, s16
	s_delay_alu instid0(SALU_CYCLE_1) | instskip(NEXT) | instid1(SALU_CYCLE_1)
	s_mul_i32 s13, s7, s10
	s_sub_co_i32 s16, s18, s13
	s_delay_alu instid0(SALU_CYCLE_1) | instskip(NEXT) | instid1(SALU_CYCLE_1)
	s_ashr_i32 s17, s16, 31
	s_mul_u64 s[20:21], s[16:17], s[14:15]
	s_delay_alu instid0(SALU_CYCLE_1) | instskip(NEXT) | instid1(SALU_CYCLE_1)
	s_or_b64 s[16:17], s[20:21], s[10:11]
	s_and_b64 s[16:17], s[16:17], 0xffffffff00000000
	s_delay_alu instid0(SALU_CYCLE_1)
	s_cmp_lg_u64 s[16:17], 0
	s_cbranch_scc0 .LBB6_52
; %bb.4:
	s_ashr_i32 s16, s11, 31
	s_delay_alu instid0(SALU_CYCLE_1) | instskip(NEXT) | instid1(SALU_CYCLE_1)
	s_mov_b32 s17, s16
	s_add_nc_u64 s[24:25], s[10:11], s[16:17]
	s_delay_alu instid0(SALU_CYCLE_1) | instskip(NEXT) | instid1(SALU_CYCLE_1)
	s_xor_b64 s[24:25], s[24:25], s[16:17]
	s_cvt_f32_u32 s13, s24
	s_cvt_f32_u32 s22, s25
	s_sub_nc_u64 s[30:31], 0, s[24:25]
	s_delay_alu instid0(SALU_CYCLE_2) | instskip(NEXT) | instid1(SALU_CYCLE_3)
	s_fmamk_f32 s13, s22, 0x4f800000, s13
	v_s_rcp_f32 s13, s13
	s_delay_alu instid0(TRANS32_DEP_1) | instskip(NEXT) | instid1(SALU_CYCLE_3)
	s_mul_f32 s13, s13, 0x5f7ffffc
	s_mul_f32 s22, s13, 0x2f800000
	s_delay_alu instid0(SALU_CYCLE_3) | instskip(NEXT) | instid1(SALU_CYCLE_3)
	s_trunc_f32 s22, s22
	s_fmamk_f32 s13, s22, 0xcf800000, s13
	s_cvt_u32_f32 s29, s22
	s_delay_alu instid0(SALU_CYCLE_2) | instskip(NEXT) | instid1(SALU_CYCLE_3)
	s_cvt_u32_f32 s28, s13
	s_mul_u64 s[34:35], s[30:31], s[28:29]
	s_delay_alu instid0(SALU_CYCLE_1)
	s_mul_hi_u32 s37, s28, s35
	s_mul_i32 s36, s28, s35
	s_mul_hi_u32 s22, s28, s34
	s_mul_i32 s27, s29, s34
	s_add_nc_u64 s[36:37], s[22:23], s[36:37]
	s_mul_hi_u32 s13, s29, s34
	s_mul_hi_u32 s33, s29, s35
	s_add_co_u32 s22, s36, s27
	s_add_co_ci_u32 s22, s37, s13
	s_mul_i32 s34, s29, s35
	s_add_co_ci_u32 s35, s33, 0
	s_delay_alu instid0(SALU_CYCLE_1) | instskip(NEXT) | instid1(SALU_CYCLE_1)
	s_add_nc_u64 s[34:35], s[22:23], s[34:35]
	s_add_co_u32 s28, s28, s34
	s_cselect_b32 s13, -1, 0
	s_delay_alu instid0(SALU_CYCLE_1) | instskip(SKIP_1) | instid1(SALU_CYCLE_1)
	s_cmp_lg_u32 s13, 0
	s_add_co_ci_u32 s29, s29, s35
	s_mul_u64 s[30:31], s[30:31], s[28:29]
	s_delay_alu instid0(SALU_CYCLE_1)
	s_mul_hi_u32 s35, s28, s31
	s_mul_i32 s34, s28, s31
	s_mul_hi_u32 s22, s28, s30
	s_mul_i32 s27, s29, s30
	s_add_nc_u64 s[34:35], s[22:23], s[34:35]
	s_mul_hi_u32 s13, s29, s30
	s_mul_hi_u32 s33, s29, s31
	s_add_co_u32 s22, s34, s27
	s_add_co_ci_u32 s22, s35, s13
	s_mul_i32 s30, s29, s31
	s_add_co_ci_u32 s31, s33, 0
	s_delay_alu instid0(SALU_CYCLE_1) | instskip(NEXT) | instid1(SALU_CYCLE_1)
	s_add_nc_u64 s[30:31], s[22:23], s[30:31]
	s_add_co_u32 s13, s28, s30
	s_cselect_b32 s22, -1, 0
	s_delay_alu instid0(SALU_CYCLE_1) | instskip(SKIP_2) | instid1(SALU_CYCLE_1)
	s_cmp_lg_u32 s22, 0
	s_add_co_ci_u32 s27, s29, s31
	s_ashr_i32 s28, s21, 31
	s_mov_b32 s29, s28
	s_delay_alu instid0(SALU_CYCLE_1) | instskip(NEXT) | instid1(SALU_CYCLE_1)
	s_add_nc_u64 s[30:31], s[20:21], s[28:29]
	s_xor_b64 s[30:31], s[30:31], s[28:29]
	s_delay_alu instid0(SALU_CYCLE_1)
	s_mul_hi_u32 s35, s30, s27
	s_mul_i32 s34, s30, s27
	s_mul_hi_u32 s22, s30, s13
	s_mul_hi_u32 s33, s31, s13
	s_mul_i32 s13, s31, s13
	s_add_nc_u64 s[34:35], s[22:23], s[34:35]
	s_mul_hi_u32 s21, s31, s27
	s_add_co_u32 s13, s34, s13
	s_add_co_ci_u32 s22, s35, s33
	s_mul_i32 s36, s31, s27
	s_add_co_ci_u32 s37, s21, 0
	s_delay_alu instid0(SALU_CYCLE_1) | instskip(NEXT) | instid1(SALU_CYCLE_1)
	s_add_nc_u64 s[34:35], s[22:23], s[36:37]
	s_and_b64 s[36:37], s[34:35], 0xffffffff00000000
	s_delay_alu instid0(SALU_CYCLE_1) | instskip(NEXT) | instid1(SALU_CYCLE_1)
	s_or_b32 s36, s36, s34
	s_mul_u64 s[34:35], s[24:25], s[36:37]
	s_add_nc_u64 s[38:39], s[36:37], 1
	s_sub_co_u32 s13, s30, s34
	s_cselect_b32 s21, -1, 0
	s_sub_co_i32 s22, s31, s35
	s_cmp_lg_u32 s21, 0
	s_add_nc_u64 s[40:41], s[36:37], 2
	s_sub_co_ci_u32 s22, s22, s25
	s_sub_co_u32 s27, s13, s24
	s_cselect_b32 s30, -1, 0
	s_delay_alu instid0(SALU_CYCLE_1) | instskip(SKIP_1) | instid1(SALU_CYCLE_1)
	s_cmp_lg_u32 s30, 0
	s_sub_co_ci_u32 s22, s22, 0
	s_cmp_ge_u32 s22, s25
	s_cselect_b32 s30, -1, 0
	s_cmp_ge_u32 s27, s24
	s_cselect_b32 s27, -1, 0
	s_cmp_eq_u32 s22, s25
	s_cselect_b32 s22, s27, s30
	s_delay_alu instid0(SALU_CYCLE_1) | instskip(SKIP_4) | instid1(SALU_CYCLE_1)
	s_cmp_lg_u32 s22, 0
	s_cselect_b32 s22, s40, s38
	s_cselect_b32 s27, s41, s39
	s_cmp_lg_u32 s21, 0
	s_sub_co_ci_u32 s21, s31, s35
	s_cmp_ge_u32 s21, s25
	s_cselect_b32 s30, -1, 0
	s_cmp_ge_u32 s13, s24
	s_cselect_b32 s13, -1, 0
	s_cmp_eq_u32 s21, s25
	s_cselect_b32 s13, s13, s30
	s_delay_alu instid0(SALU_CYCLE_1) | instskip(SKIP_3) | instid1(SALU_CYCLE_1)
	s_cmp_lg_u32 s13, 0
	s_cselect_b32 s25, s27, s37
	s_cselect_b32 s24, s22, s36
	s_xor_b64 s[16:17], s[28:29], s[16:17]
	s_xor_b64 s[24:25], s[24:25], s[16:17]
	s_delay_alu instid0(SALU_CYCLE_1)
	s_sub_nc_u64 s[16:17], s[24:25], s[16:17]
	s_and_not1_b32 vcc_lo, exec_lo, s23
	s_cbranch_vccnz .LBB6_6
.LBB6_5:
	v_cvt_f32_u32_e32 v1, s10
	s_sub_co_i32 s16, 0, s10
	s_delay_alu instid0(VALU_DEP_1) | instskip(SKIP_1) | instid1(TRANS32_DEP_1)
	v_rcp_iflag_f32_e32 v1, v1
	v_nop
	v_mul_f32_e32 v1, 0x4f7ffffe, v1
	s_delay_alu instid0(VALU_DEP_1) | instskip(NEXT) | instid1(VALU_DEP_1)
	v_cvt_u32_f32_e32 v1, v1
	v_readfirstlane_b32 s13, v1
	s_mul_i32 s16, s16, s13
	s_delay_alu instid0(SALU_CYCLE_1) | instskip(NEXT) | instid1(SALU_CYCLE_1)
	s_mul_hi_u32 s16, s13, s16
	s_add_co_i32 s13, s13, s16
	s_delay_alu instid0(SALU_CYCLE_1) | instskip(NEXT) | instid1(SALU_CYCLE_1)
	s_mul_hi_u32 s13, s20, s13
	s_mul_i32 s16, s13, s10
	s_add_co_i32 s17, s13, 1
	s_sub_co_i32 s16, s20, s16
	s_delay_alu instid0(SALU_CYCLE_1)
	s_sub_co_i32 s20, s16, s10
	s_cmp_ge_u32 s16, s10
	s_cselect_b32 s13, s17, s13
	s_cselect_b32 s16, s20, s16
	s_add_co_i32 s17, s13, 1
	s_cmp_ge_u32 s16, s10
	s_cselect_b32 s16, s17, s13
.LBB6_6:
	s_add_nc_u64 s[18:19], s[18:19], 1
	s_delay_alu instid0(SALU_CYCLE_1) | instskip(NEXT) | instid1(SALU_CYCLE_1)
	s_mul_u64 s[18:19], s[18:19], s[14:15]
	s_add_nc_u64 s[18:19], s[18:19], -1
	s_delay_alu instid0(SALU_CYCLE_1) | instskip(NEXT) | instid1(SALU_CYCLE_1)
	s_or_b64 s[20:21], s[18:19], s[10:11]
	s_and_b64 s[20:21], s[20:21], 0xffffffff00000000
	s_delay_alu instid0(SALU_CYCLE_1)
	s_cmp_lg_u64 s[20:21], 0
	s_cbranch_scc0 .LBB6_53
; %bb.7:
	s_ashr_i32 s20, s11, 31
	s_delay_alu instid0(SALU_CYCLE_1) | instskip(NEXT) | instid1(SALU_CYCLE_1)
	s_mov_b32 s21, s20
	s_add_nc_u64 s[22:23], s[10:11], s[20:21]
	s_delay_alu instid0(SALU_CYCLE_1) | instskip(SKIP_4) | instid1(SALU_CYCLE_2)
	s_xor_b64 s[24:25], s[22:23], s[20:21]
	s_mov_b32 s23, 0
	s_cvt_f32_u32 s11, s24
	s_cvt_f32_u32 s13, s25
	s_sub_nc_u64 s[30:31], 0, s[24:25]
	s_fmamk_f32 s11, s13, 0x4f800000, s11
	s_delay_alu instid0(SALU_CYCLE_3) | instskip(NEXT) | instid1(TRANS32_DEP_1)
	v_s_rcp_f32 s11, s11
	s_mul_f32 s11, s11, 0x5f7ffffc
	s_delay_alu instid0(SALU_CYCLE_3) | instskip(NEXT) | instid1(SALU_CYCLE_3)
	s_mul_f32 s13, s11, 0x2f800000
	s_trunc_f32 s13, s13
	s_delay_alu instid0(SALU_CYCLE_3) | instskip(SKIP_1) | instid1(SALU_CYCLE_2)
	s_fmamk_f32 s11, s13, 0xcf800000, s11
	s_cvt_u32_f32 s29, s13
	s_cvt_u32_f32 s28, s11
	s_delay_alu instid0(SALU_CYCLE_3) | instskip(NEXT) | instid1(SALU_CYCLE_1)
	s_mul_u64 s[34:35], s[30:31], s[28:29]
	s_mul_hi_u32 s37, s28, s35
	s_mul_i32 s36, s28, s35
	s_mul_hi_u32 s22, s28, s34
	s_mul_i32 s13, s29, s34
	s_add_nc_u64 s[36:37], s[22:23], s[36:37]
	s_mul_hi_u32 s11, s29, s34
	s_mul_hi_u32 s15, s29, s35
	s_add_co_u32 s13, s36, s13
	s_add_co_ci_u32 s22, s37, s11
	s_mul_i32 s34, s29, s35
	s_add_co_ci_u32 s35, s15, 0
	s_delay_alu instid0(SALU_CYCLE_1) | instskip(NEXT) | instid1(SALU_CYCLE_1)
	s_add_nc_u64 s[34:35], s[22:23], s[34:35]
	s_add_co_u32 s28, s28, s34
	s_cselect_b32 s11, -1, 0
	s_delay_alu instid0(SALU_CYCLE_1) | instskip(SKIP_1) | instid1(SALU_CYCLE_1)
	s_cmp_lg_u32 s11, 0
	s_add_co_ci_u32 s29, s29, s35
	s_mul_u64 s[30:31], s[30:31], s[28:29]
	s_delay_alu instid0(SALU_CYCLE_1)
	s_mul_hi_u32 s35, s28, s31
	s_mul_i32 s34, s28, s31
	s_mul_hi_u32 s22, s28, s30
	s_mul_i32 s13, s29, s30
	s_add_nc_u64 s[34:35], s[22:23], s[34:35]
	s_mul_hi_u32 s11, s29, s30
	s_mul_hi_u32 s15, s29, s31
	s_add_co_u32 s13, s34, s13
	s_add_co_ci_u32 s22, s35, s11
	s_mul_i32 s30, s29, s31
	s_add_co_ci_u32 s31, s15, 0
	s_delay_alu instid0(SALU_CYCLE_1) | instskip(NEXT) | instid1(SALU_CYCLE_1)
	s_add_nc_u64 s[30:31], s[22:23], s[30:31]
	s_add_co_u32 s11, s28, s30
	s_cselect_b32 s13, -1, 0
	s_delay_alu instid0(SALU_CYCLE_1) | instskip(SKIP_2) | instid1(SALU_CYCLE_1)
	s_cmp_lg_u32 s13, 0
	s_add_co_ci_u32 s13, s29, s31
	s_ashr_i32 s28, s19, 31
	s_mov_b32 s29, s28
	s_delay_alu instid0(SALU_CYCLE_1) | instskip(NEXT) | instid1(SALU_CYCLE_1)
	s_add_nc_u64 s[30:31], s[18:19], s[28:29]
	s_xor_b64 s[30:31], s[30:31], s[28:29]
	s_delay_alu instid0(SALU_CYCLE_1)
	s_mul_hi_u32 s35, s30, s13
	s_mul_i32 s34, s30, s13
	s_mul_hi_u32 s22, s30, s11
	s_mul_hi_u32 s17, s31, s11
	s_mul_i32 s11, s31, s11
	s_add_nc_u64 s[34:35], s[22:23], s[34:35]
	s_mul_hi_u32 s15, s31, s13
	s_add_co_u32 s11, s34, s11
	s_add_co_ci_u32 s22, s35, s17
	s_mul_i32 s36, s31, s13
	s_add_co_ci_u32 s37, s15, 0
	s_delay_alu instid0(SALU_CYCLE_1) | instskip(NEXT) | instid1(SALU_CYCLE_1)
	s_add_nc_u64 s[34:35], s[22:23], s[36:37]
	s_and_b64 s[36:37], s[34:35], 0xffffffff00000000
	s_delay_alu instid0(SALU_CYCLE_1) | instskip(NEXT) | instid1(SALU_CYCLE_1)
	s_or_b32 s36, s36, s34
	s_mul_u64 s[34:35], s[24:25], s[36:37]
	s_add_nc_u64 s[38:39], s[36:37], 1
	s_sub_co_u32 s11, s30, s34
	s_cselect_b32 s13, -1, 0
	s_sub_co_i32 s15, s31, s35
	s_cmp_lg_u32 s13, 0
	s_add_nc_u64 s[40:41], s[36:37], 2
	s_sub_co_ci_u32 s15, s15, s25
	s_sub_co_u32 s17, s11, s24
	s_cselect_b32 s19, -1, 0
	s_delay_alu instid0(SALU_CYCLE_1) | instskip(SKIP_1) | instid1(SALU_CYCLE_1)
	s_cmp_lg_u32 s19, 0
	s_sub_co_ci_u32 s15, s15, 0
	s_cmp_ge_u32 s15, s25
	s_cselect_b32 s19, -1, 0
	s_cmp_ge_u32 s17, s24
	s_cselect_b32 s17, -1, 0
	s_cmp_eq_u32 s15, s25
	s_cselect_b32 s15, s17, s19
	s_delay_alu instid0(SALU_CYCLE_1) | instskip(SKIP_4) | instid1(SALU_CYCLE_1)
	s_cmp_lg_u32 s15, 0
	s_cselect_b32 s15, s40, s38
	s_cselect_b32 s17, s41, s39
	s_cmp_lg_u32 s13, 0
	s_sub_co_ci_u32 s13, s31, s35
	s_cmp_ge_u32 s13, s25
	s_cselect_b32 s19, -1, 0
	s_cmp_ge_u32 s11, s24
	s_cselect_b32 s11, -1, 0
	s_cmp_eq_u32 s13, s25
	s_cselect_b32 s11, s11, s19
	s_delay_alu instid0(SALU_CYCLE_1) | instskip(SKIP_3) | instid1(SALU_CYCLE_1)
	s_cmp_lg_u32 s11, 0
	s_cselect_b32 s25, s17, s37
	s_cselect_b32 s24, s15, s36
	s_xor_b64 s[20:21], s[28:29], s[20:21]
	s_xor_b64 s[24:25], s[24:25], s[20:21]
	s_delay_alu instid0(SALU_CYCLE_1)
	s_sub_nc_u64 s[20:21], s[24:25], s[20:21]
	s_load_b32 s13, s[0:1], 0x3c
	s_cbranch_execnz .LBB6_9
.LBB6_8:
	v_cvt_f32_u32_e32 v1, s10
	s_sub_co_i32 s15, 0, s10
	s_delay_alu instid0(VALU_DEP_1) | instskip(SKIP_1) | instid1(TRANS32_DEP_1)
	v_rcp_iflag_f32_e32 v1, v1
	v_nop
	v_mul_f32_e32 v1, 0x4f7ffffe, v1
	s_delay_alu instid0(VALU_DEP_1) | instskip(NEXT) | instid1(VALU_DEP_1)
	v_cvt_u32_f32_e32 v1, v1
	v_readfirstlane_b32 s11, v1
	s_mul_i32 s15, s15, s11
	s_delay_alu instid0(SALU_CYCLE_1) | instskip(NEXT) | instid1(SALU_CYCLE_1)
	s_mul_hi_u32 s15, s11, s15
	s_add_co_i32 s11, s11, s15
	s_delay_alu instid0(SALU_CYCLE_1) | instskip(NEXT) | instid1(SALU_CYCLE_1)
	s_mul_hi_u32 s11, s18, s11
	s_mul_i32 s15, s11, s10
	s_add_co_i32 s17, s11, 1
	s_sub_co_i32 s15, s18, s15
	s_delay_alu instid0(SALU_CYCLE_1)
	s_sub_co_i32 s18, s15, s10
	s_cmp_ge_u32 s15, s10
	s_cselect_b32 s11, s17, s11
	s_cselect_b32 s15, s18, s15
	s_add_co_i32 s17, s11, 1
	s_cmp_ge_u32 s15, s10
	s_cselect_b32 s20, s17, s11
.LBB6_9:
	s_bfe_u32 s10, ttmp6, 0x40010
	s_bfe_u32 s11, ttmp6, 0x40004
	s_add_co_i32 s10, s10, 1
	v_bfe_u32 v1, v0, 10, 10
	s_mul_i32 s15, ttmp7, s10
	s_wait_kmcnt 0x0
	s_lshr_b32 s10, s13, 16
	s_add_co_i32 s11, s11, s15
	s_cmp_eq_u32 s26, 0
	s_mov_b32 s15, exec_lo
	s_cselect_b32 s11, ttmp7, s11
	s_delay_alu instid0(SALU_CYCLE_1) | instskip(SKIP_1) | instid1(VALU_DEP_1)
	v_mad_u32 v2, s11, s10, v1
	s_mov_b32 s11, 0
	v_cmpx_gt_i32_e64 s8, v2
	s_cbranch_execz .LBB6_50
; %bb.10:
	s_mul_i32 s7, s7, s14
	s_mul_i32 s4, s4, s12
	s_add_co_i32 s7, s16, s7
	s_mul_i32 s12, s6, s5
	s_add_co_i32 s4, s4, s7
	s_ashr_i32 s15, s8, 31
	s_mov_b32 s14, s8
	s_ashr_i32 s17, s9, 31
	s_mov_b32 s16, s9
	s_sub_co_i32 s33, s20, s7
	s_mul_i32 s18, s12, s4
	s_mul_u64 s[20:21], s[16:17], s[14:15]
	s_ashr_i32 s19, s18, 31
	s_mul_u64 s[2:3], s[20:21], s[2:3]
	s_add_co_i32 s33, s33, 1
	s_lshl_b64 s[22:23], s[18:19], 1
	s_lshl_b64 s[2:3], s[2:3], 1
	s_and_b32 s34, s13, 0xffff
	s_ashr_i32 s19, s5, 31
	s_ashr_i32 s7, s6, 31
	s_cmp_gt_i32 s33, 0
	v_cvt_f32_u32_e32 v1, s14
	s_cselect_b32 s35, -1, 0
	s_ashr_i32 s36, s8, 31
	s_abs_i32 s38, s9
	s_add_co_i32 s4, s8, s36
	v_rcp_iflag_f32_e32 v1, v1
	s_xor_b32 s37, s4, s36
	s_clause 0x1
	s_load_b32 s40, s[0:1], 0x34
	s_load_b128 s[24:27], s[0:1], 0x0
	v_cvt_f32_u32_e32 v3, s37
	s_wait_xcnt 0x0
	s_cvt_f32_u32 s0, s38
	v_and_b32_e32 v18, 0x3ff, v0
	s_sub_co_i32 s1, 0, s8
	v_mul_f32_e32 v1, 0x4f7ffffe, v1
	v_rcp_iflag_f32_e32 v3, v3
	v_rcp_iflag_f32_e32 v4, s0
	s_sub_co_i32 s0, 0, s37
	s_cvt_f32_i32 s4, s33
	s_mov_b32 s18, s5
	s_mov_b64 s[20:21], 0xffffffff
	s_ashr_i32 s13, s12, 31
	v_mul_f32_e32 v3, 0x4f7ffffe, v3
	s_cvt_f16_f32 s39, s4
	s_sub_co_i32 s4, 0, s38
	s_ashr_i32 s28, s15, 31
	s_mov_b32 s41, 0
	v_cvt_u32_f32_e32 v0, v3
	v_cvt_u32_f32_e32 v3, v1
	s_wait_kmcnt 0x0
	s_add_nc_u64 s[22:23], s[24:25], s[22:23]
	s_add_nc_u64 s[24:25], s[26:27], s[2:3]
	s_mul_i32 s40, s40, s10
	v_mul_lo_u32 v5, s0, v0
	v_mul_lo_u32 v6, s1, v3
	v_readfirstlane_b32 s1, v4
	v_cmp_gt_i32_e64 s0, s9, v18
	s_mov_b32 s27, s11
	s_mul_f32 s1, s1, 0x4f7ffffe
	v_mul_hi_u32 v4, v0, v5
	v_mul_hi_u32 v5, v3, v6
	s_delay_alu instid0(SALU_CYCLE_1) | instskip(SKIP_1) | instid1(SALU_CYCLE_2)
	s_cvt_u32_f32 s1, s1
	v_mov_b32_e32 v1, 0
	s_mul_i32 s4, s4, s1
	s_delay_alu instid0(SALU_CYCLE_1) | instskip(NEXT) | instid1(SALU_CYCLE_1)
	s_mul_hi_u32 s2, s1, s4
	s_add_co_i32 s26, s1, s2
	s_delay_alu instid0(VALU_DEP_2)
	v_dual_add_nc_u32 v19, v0, v4 :: v_dual_add_nc_u32 v20, v3, v5
	s_branch .LBB6_12
.LBB6_11:                               ;   in Loop: Header=BB6_12 Depth=1
	s_or_b32 exec_lo, exec_lo, s29
	v_add_nc_u32_e32 v2, s40, v2
	s_delay_alu instid0(VALU_DEP_1) | instskip(SKIP_1) | instid1(SALU_CYCLE_1)
	v_cmp_le_i32_e32 vcc_lo, s8, v2
	s_or_b32 s41, vcc_lo, s41
	s_and_not1_b32 exec_lo, exec_lo, s41
	s_cbranch_execz .LBB6_50
.LBB6_12:                               ; =>This Loop Header: Depth=1
                                        ;     Child Loop BB6_27 Depth 2
                                        ;       Child Loop BB6_38 Depth 3
                                        ;         Child Loop BB6_41 Depth 4
                                        ;           Child Loop BB6_44 Depth 5
                                        ;             Child Loop BB6_46 Depth 6
	v_dual_mov_b32 v4, v1 :: v_dual_ashrrev_i32 v3, 31, v2
	s_delay_alu instid0(VALU_DEP_1) | instskip(NEXT) | instid1(VALU_DEP_1)
	v_or_b32_e32 v5, s15, v3
	v_cmp_ne_u64_e32 vcc_lo, 0, v[4:5]
                                        ; implicit-def: $vgpr4_vgpr5
	s_and_saveexec_b32 s1, vcc_lo
	s_delay_alu instid0(SALU_CYCLE_1)
	s_xor_b32 s1, exec_lo, s1
	s_cbranch_execz .LBB6_14
; %bb.13:                               ;   in Loop: Header=BB6_12 Depth=1
	v_ashrrev_i32_e32 v0, 31, v2
	s_delay_alu instid0(VALU_DEP_1) | instskip(NEXT) | instid1(VALU_DEP_1)
	v_add_nc_u32_e32 v4, v2, v0
	v_xor_b32_e32 v4, v4, v0
	s_delay_alu instid0(VALU_DEP_1) | instskip(NEXT) | instid1(VALU_DEP_1)
	v_mul_hi_u32 v5, v4, v19
	v_mul_lo_u32 v6, v5, s37
	s_delay_alu instid0(VALU_DEP_1) | instskip(SKIP_1) | instid1(VALU_DEP_2)
	v_dual_sub_nc_u32 v4, v4, v6 :: v_dual_add_nc_u32 v6, 1, v5
	v_xor_b32_e32 v0, s36, v0
	v_subrev_nc_u32_e32 v7, s37, v4
	v_cmp_le_u32_e32 vcc_lo, s37, v4
	s_delay_alu instid0(VALU_DEP_2) | instskip(NEXT) | instid1(VALU_DEP_1)
	v_dual_cndmask_b32 v4, v4, v7 :: v_dual_cndmask_b32 v5, v5, v6
	v_cmp_le_u32_e32 vcc_lo, s37, v4
	s_delay_alu instid0(VALU_DEP_2) | instskip(NEXT) | instid1(VALU_DEP_1)
	v_add_nc_u32_e32 v6, 1, v5
	v_cndmask_b32_e32 v4, v5, v6, vcc_lo
	s_delay_alu instid0(VALU_DEP_1) | instskip(NEXT) | instid1(VALU_DEP_1)
	v_xor_b32_e32 v4, v4, v0
	v_sub_nc_u32_e32 v4, v4, v0
	s_delay_alu instid0(VALU_DEP_1)
	v_ashrrev_i32_e32 v5, 31, v4
.LBB6_14:                               ;   in Loop: Header=BB6_12 Depth=1
	s_and_not1_saveexec_b32 s1, s1
	s_cbranch_execz .LBB6_16
; %bb.15:                               ;   in Loop: Header=BB6_12 Depth=1
	v_mul_hi_u32 v0, v2, v20
	s_delay_alu instid0(VALU_DEP_1) | instskip(SKIP_1) | instid1(VALU_DEP_2)
	v_mul_lo_u32 v4, v0, s14
	v_add_nc_u32_e32 v5, 1, v0
	v_sub_nc_u32_e32 v4, v2, v4
	s_delay_alu instid0(VALU_DEP_1) | instskip(NEXT) | instid1(VALU_DEP_3)
	v_cmp_le_u32_e32 vcc_lo, s14, v4
	v_cndmask_b32_e32 v0, v0, v5, vcc_lo
	v_subrev_nc_u32_e32 v6, s14, v4
	s_delay_alu instid0(VALU_DEP_1) | instskip(NEXT) | instid1(VALU_DEP_1)
	v_dual_cndmask_b32 v4, v4, v6 :: v_dual_add_nc_u32 v5, 1, v0
	v_cmp_le_u32_e32 vcc_lo, s14, v4
	s_delay_alu instid0(VALU_DEP_2) | instskip(NEXT) | instid1(VALU_DEP_1)
	v_cndmask_b32_e32 v0, v0, v5, vcc_lo
	v_mov_b64_e32 v[4:5], v[0:1]
.LBB6_16:                               ;   in Loop: Header=BB6_12 Depth=1
	s_or_b32 exec_lo, exec_lo, s1
	s_delay_alu instid0(VALU_DEP_1) | instskip(NEXT) | instid1(VALU_DEP_1)
	v_mul_u64_e32 v[6:7], s[14:15], v[4:5]
	v_sub_nc_u64_e32 v[6:7], v[2:3], v[6:7]
	s_delay_alu instid0(VALU_DEP_1) | instskip(NEXT) | instid1(VALU_DEP_1)
	v_mul_u64_e32 v[8:9], s[18:19], v[6:7]
	v_dual_mov_b32 v6, v1 :: v_dual_bitop2_b32 v7, s15, v9 bitop3:0x54
	s_delay_alu instid0(VALU_DEP_1) | instskip(SKIP_1) | instid1(SALU_CYCLE_1)
	v_cmp_ne_u64_e32 vcc_lo, 0, v[6:7]
                                        ; implicit-def: $vgpr6_vgpr7
	s_and_saveexec_b32 s1, vcc_lo
	s_xor_b32 s4, exec_lo, s1
	s_cbranch_execz .LBB6_18
; %bb.17:                               ;   in Loop: Header=BB6_12 Depth=1
	s_mov_b32 s29, s28
	v_dual_mov_b32 v13, v1 :: v_dual_ashrrev_i32 v6, 31, v9
	s_add_nc_u64 s[2:3], s[14:15], s[28:29]
	s_delay_alu instid0(SALU_CYCLE_1) | instskip(NEXT) | instid1(VALU_DEP_1)
	s_xor_b64 s[2:3], s[2:3], s[28:29]
	v_mov_b32_e32 v7, v6
	s_cvt_f32_u32 s1, s2
	s_cvt_f32_u32 s5, s3
	s_sub_nc_u64 s[42:43], 0, s[2:3]
	s_delay_alu instid0(VALU_DEP_1) | instskip(NEXT) | instid1(SALU_CYCLE_1)
	v_add_nc_u64_e32 v[8:9], v[8:9], v[6:7]
	s_fmamk_f32 s1, s5, 0x4f800000, s1
	s_delay_alu instid0(SALU_CYCLE_3) | instskip(NEXT) | instid1(VALU_DEP_1)
	v_s_rcp_f32 s1, s1
	v_xor_b32_e32 v0, v8, v6
	s_delay_alu instid0(VALU_DEP_2) | instskip(SKIP_1) | instid1(TRANS32_DEP_1)
	v_xor_b32_e32 v12, v9, v6
	v_mov_b32_e32 v17, v1
	s_mul_f32 s1, s1, 0x5f7ffffc
	s_delay_alu instid0(SALU_CYCLE_3) | instskip(NEXT) | instid1(SALU_CYCLE_3)
	s_mul_f32 s5, s1, 0x2f800000
	s_trunc_f32 s5, s5
	s_delay_alu instid0(SALU_CYCLE_3) | instskip(SKIP_1) | instid1(SALU_CYCLE_2)
	s_fmamk_f32 s1, s5, 0xcf800000, s1
	s_cvt_u32_f32 s31, s5
	s_cvt_u32_f32 s30, s1
	s_delay_alu instid0(SALU_CYCLE_3) | instskip(NEXT) | instid1(SALU_CYCLE_1)
	s_mul_u64 s[44:45], s[42:43], s[30:31]
	s_mul_hi_u32 s47, s30, s45
	s_mul_i32 s46, s30, s45
	s_mul_hi_u32 s10, s30, s44
	s_mul_i32 s5, s31, s44
	s_add_nc_u64 s[46:47], s[10:11], s[46:47]
	s_mul_hi_u32 s1, s31, s44
	s_mul_hi_u32 s29, s31, s45
	s_add_co_u32 s5, s46, s5
	s_add_co_ci_u32 s10, s47, s1
	s_mul_i32 s44, s31, s45
	s_add_co_ci_u32 s45, s29, 0
	s_delay_alu instid0(SALU_CYCLE_1) | instskip(NEXT) | instid1(SALU_CYCLE_1)
	s_add_nc_u64 s[44:45], s[10:11], s[44:45]
	s_add_co_u32 s30, s30, s44
	s_cselect_b32 s1, -1, 0
	s_delay_alu instid0(SALU_CYCLE_1) | instskip(SKIP_1) | instid1(SALU_CYCLE_1)
	s_cmp_lg_u32 s1, 0
	s_add_co_ci_u32 s31, s31, s45
	s_mul_u64 s[42:43], s[42:43], s[30:31]
	s_delay_alu instid0(SALU_CYCLE_1)
	s_mul_hi_u32 s45, s30, s43
	s_mul_i32 s44, s30, s43
	s_mul_hi_u32 s10, s30, s42
	s_mul_i32 s5, s31, s42
	s_add_nc_u64 s[44:45], s[10:11], s[44:45]
	s_mul_hi_u32 s1, s31, s42
	s_mul_hi_u32 s29, s31, s43
	s_add_co_u32 s5, s44, s5
	s_add_co_ci_u32 s10, s45, s1
	s_mul_i32 s42, s31, s43
	s_add_co_ci_u32 s43, s29, 0
	s_delay_alu instid0(SALU_CYCLE_1) | instskip(NEXT) | instid1(SALU_CYCLE_1)
	s_add_nc_u64 s[42:43], s[10:11], s[42:43]
	s_add_co_u32 s30, s30, s42
	s_cselect_b32 s1, -1, 0
	v_mul_hi_u32 v16, v0, s30
	s_cmp_lg_u32 s1, 0
	s_add_co_ci_u32 s10, s31, s43
	s_and_b64 s[42:43], s[30:31], s[20:21]
	v_mul_u64_e32 v[10:11], s[10:11], v[0:1]
	v_mul_u64_e32 v[8:9], s[42:43], v[12:13]
	;; [unrolled: 1-line block ×3, first 2 shown]
	s_delay_alu instid0(VALU_DEP_3) | instskip(NEXT) | instid1(VALU_DEP_1)
	v_add_nc_u64_e32 v[10:11], v[16:17], v[10:11]
	v_add_co_u32 v5, vcc_lo, v10, v8
	s_delay_alu instid0(VALU_DEP_2) | instskip(NEXT) | instid1(VALU_DEP_4)
	v_add_co_ci_u32_e32 v16, vcc_lo, v11, v9, vcc_lo
	v_add_co_ci_u32_e32 v15, vcc_lo, 0, v15, vcc_lo
	s_delay_alu instid0(VALU_DEP_1) | instskip(NEXT) | instid1(VALU_DEP_1)
	v_add_nc_u64_e32 v[8:9], v[16:17], v[14:15]
	v_mul_u64_e32 v[10:11], s[2:3], v[8:9]
	s_delay_alu instid0(VALU_DEP_1) | instskip(NEXT) | instid1(VALU_DEP_2)
	v_sub_nc_u32_e32 v5, v12, v11
	v_sub_co_u32 v0, vcc_lo, v0, v10
	s_delay_alu instid0(VALU_DEP_1) | instskip(NEXT) | instid1(VALU_DEP_3)
	v_sub_co_ci_u32_e64 v14, null, v12, v11, vcc_lo
	v_subrev_co_ci_u32_e64 v5, null, s3, v5, vcc_lo
	s_delay_alu instid0(VALU_DEP_3) | instskip(SKIP_1) | instid1(VALU_DEP_3)
	v_sub_co_u32 v7, s1, v0, s2
	v_add_nc_u64_e32 v[12:13], 1, v[8:9]
	v_subrev_co_ci_u32_e64 v5, null, 0, v5, s1
	s_delay_alu instid0(VALU_DEP_3) | instskip(SKIP_1) | instid1(VALU_DEP_3)
	v_cmp_le_u32_e32 vcc_lo, s2, v7
	v_cndmask_b32_e64 v7, 0, -1, vcc_lo
	v_cmp_le_u32_e32 vcc_lo, s3, v5
	v_cndmask_b32_e64 v10, 0, -1, vcc_lo
	v_cmp_le_u32_e32 vcc_lo, s2, v0
	v_cndmask_b32_e64 v0, 0, -1, vcc_lo
	v_cmp_le_u32_e32 vcc_lo, s3, v14
	v_cndmask_b32_e64 v15, 0, -1, vcc_lo
	v_cmp_eq_u32_e32 vcc_lo, s3, v5
	v_cndmask_b32_e32 v5, v10, v7, vcc_lo
	v_cmp_eq_u32_e32 vcc_lo, s3, v14
	v_add_nc_u64_e32 v[10:11], 2, v[8:9]
	v_cndmask_b32_e32 v0, v15, v0, vcc_lo
	s_delay_alu instid0(VALU_DEP_4) | instskip(NEXT) | instid1(VALU_DEP_3)
	v_cmp_ne_u32_e32 vcc_lo, 0, v5
	v_cndmask_b32_e32 v5, v13, v11, vcc_lo
	s_delay_alu instid0(VALU_DEP_3) | instskip(NEXT) | instid1(VALU_DEP_1)
	v_cmp_ne_u32_e64 s1, 0, v0
	v_dual_cndmask_b32 v0, v12, v10, vcc_lo :: v_dual_cndmask_b32 v5, v9, v5, s1
	s_delay_alu instid0(VALU_DEP_1) | instskip(NEXT) | instid1(VALU_DEP_1)
	v_dual_cndmask_b32 v0, v8, v0, s1 :: v_dual_bitop2_b32 v6, s28, v6 bitop3:0x14
	v_dual_mov_b32 v7, v6 :: v_dual_bitop2_b32 v9, v5, v6 bitop3:0x14
	s_delay_alu instid0(VALU_DEP_2) | instskip(NEXT) | instid1(VALU_DEP_1)
	v_xor_b32_e32 v8, v0, v6
	v_sub_nc_u64_e32 v[6:7], v[8:9], v[6:7]
                                        ; implicit-def: $vgpr8_vgpr9
.LBB6_18:                               ;   in Loop: Header=BB6_12 Depth=1
	s_and_not1_saveexec_b32 s1, s4
	s_cbranch_execz .LBB6_20
; %bb.19:                               ;   in Loop: Header=BB6_12 Depth=1
	s_delay_alu instid0(VALU_DEP_3) | instskip(NEXT) | instid1(VALU_DEP_1)
	v_mul_hi_u32 v0, v8, v20
	v_mul_lo_u32 v5, v0, s14
	s_delay_alu instid0(VALU_DEP_1) | instskip(NEXT) | instid1(VALU_DEP_1)
	v_dual_add_nc_u32 v6, 1, v0 :: v_dual_sub_nc_u32 v5, v8, v5
	v_subrev_nc_u32_e32 v7, s14, v5
	v_cmp_le_u32_e32 vcc_lo, s14, v5
	s_delay_alu instid0(VALU_DEP_2) | instskip(NEXT) | instid1(VALU_DEP_1)
	v_dual_cndmask_b32 v5, v5, v7 :: v_dual_cndmask_b32 v0, v0, v6
	v_cmp_le_u32_e32 vcc_lo, s14, v5
	s_delay_alu instid0(VALU_DEP_2) | instskip(NEXT) | instid1(VALU_DEP_1)
	v_add_nc_u32_e32 v6, 1, v0
	v_cndmask_b32_e32 v6, v0, v6, vcc_lo
.LBB6_20:                               ;   in Loop: Header=BB6_12 Depth=1
	s_or_b32 exec_lo, exec_lo, s1
	v_add_nc_u64_e32 v[10:11], 1, v[2:3]
	s_delay_alu instid0(VALU_DEP_1) | instskip(NEXT) | instid1(VALU_DEP_1)
	v_mad_nc_u64_u32 v[8:9], v10, s18, -1
	v_mad_u32 v0, v11, s18, v9
	s_delay_alu instid0(VALU_DEP_1) | instskip(NEXT) | instid1(VALU_DEP_1)
	v_mad_u32 v9, v10, s19, v0
	v_dual_mov_b32 v10, v1 :: v_dual_bitop2_b32 v11, s15, v9 bitop3:0x54
	s_delay_alu instid0(VALU_DEP_1) | instskip(SKIP_1) | instid1(SALU_CYCLE_1)
	v_cmp_ne_u64_e32 vcc_lo, 0, v[10:11]
                                        ; implicit-def: $vgpr10_vgpr11
	s_and_saveexec_b32 s1, vcc_lo
	s_xor_b32 s4, exec_lo, s1
	s_cbranch_execnz .LBB6_23
; %bb.21:                               ;   in Loop: Header=BB6_12 Depth=1
	s_and_not1_saveexec_b32 s1, s4
	s_cbranch_execnz .LBB6_24
.LBB6_22:                               ;   in Loop: Header=BB6_12 Depth=1
	s_or_b32 exec_lo, exec_lo, s1
	s_and_saveexec_b32 s29, s0
	s_cbranch_execz .LBB6_11
	s_branch .LBB6_25
.LBB6_23:                               ;   in Loop: Header=BB6_12 Depth=1
	s_mov_b32 s29, s28
	v_dual_mov_b32 v15, v1 :: v_dual_ashrrev_i32 v10, 31, v9
	s_add_nc_u64 s[2:3], s[14:15], s[28:29]
	s_delay_alu instid0(SALU_CYCLE_1) | instskip(NEXT) | instid1(VALU_DEP_1)
	s_xor_b64 s[2:3], s[2:3], s[28:29]
	v_mov_b32_e32 v11, v10
	s_cvt_f32_u32 s1, s2
	s_cvt_f32_u32 s5, s3
	s_sub_nc_u64 s[42:43], 0, s[2:3]
	s_delay_alu instid0(VALU_DEP_1) | instskip(NEXT) | instid1(SALU_CYCLE_1)
	v_add_nc_u64_e32 v[8:9], v[8:9], v[10:11]
	s_fmamk_f32 s1, s5, 0x4f800000, s1
	s_delay_alu instid0(SALU_CYCLE_3) | instskip(NEXT) | instid1(VALU_DEP_1)
	v_s_rcp_f32 s1, s1
	v_xor_b32_e32 v0, v8, v10
	s_delay_alu instid0(VALU_DEP_2) | instskip(SKIP_1) | instid1(TRANS32_DEP_1)
	v_xor_b32_e32 v14, v9, v10
	v_dual_mov_b32 v23, v1 :: v_dual_bitop2_b32 v10, s28, v10 bitop3:0x14
	s_mul_f32 s1, s1, 0x5f7ffffc
	s_delay_alu instid0(SALU_CYCLE_3) | instskip(NEXT) | instid1(SALU_CYCLE_3)
	s_mul_f32 s5, s1, 0x2f800000
	s_trunc_f32 s5, s5
	s_delay_alu instid0(SALU_CYCLE_3) | instskip(SKIP_1) | instid1(SALU_CYCLE_2)
	s_fmamk_f32 s1, s5, 0xcf800000, s1
	s_cvt_u32_f32 s31, s5
	s_cvt_u32_f32 s30, s1
	s_delay_alu instid0(SALU_CYCLE_3) | instskip(NEXT) | instid1(SALU_CYCLE_1)
	s_mul_u64 s[44:45], s[42:43], s[30:31]
	s_mul_hi_u32 s47, s30, s45
	s_mul_i32 s46, s30, s45
	s_mul_hi_u32 s10, s30, s44
	s_mul_i32 s5, s31, s44
	s_add_nc_u64 s[46:47], s[10:11], s[46:47]
	s_mul_hi_u32 s1, s31, s44
	s_mul_hi_u32 s29, s31, s45
	s_add_co_u32 s5, s46, s5
	s_add_co_ci_u32 s10, s47, s1
	s_mul_i32 s44, s31, s45
	s_add_co_ci_u32 s45, s29, 0
	s_delay_alu instid0(SALU_CYCLE_1) | instskip(NEXT) | instid1(SALU_CYCLE_1)
	s_add_nc_u64 s[44:45], s[10:11], s[44:45]
	s_add_co_u32 s30, s30, s44
	s_cselect_b32 s1, -1, 0
	s_delay_alu instid0(SALU_CYCLE_1) | instskip(SKIP_1) | instid1(SALU_CYCLE_1)
	s_cmp_lg_u32 s1, 0
	s_add_co_ci_u32 s31, s31, s45
	s_mul_u64 s[42:43], s[42:43], s[30:31]
	s_delay_alu instid0(SALU_CYCLE_1)
	s_mul_hi_u32 s45, s30, s43
	s_mul_i32 s44, s30, s43
	s_mul_hi_u32 s10, s30, s42
	s_mul_i32 s5, s31, s42
	s_add_nc_u64 s[44:45], s[10:11], s[44:45]
	s_mul_hi_u32 s1, s31, s42
	s_mul_hi_u32 s29, s31, s43
	s_add_co_u32 s5, s44, s5
	s_add_co_ci_u32 s10, s45, s1
	s_mul_i32 s42, s31, s43
	s_add_co_ci_u32 s43, s29, 0
	s_delay_alu instid0(SALU_CYCLE_1) | instskip(NEXT) | instid1(SALU_CYCLE_1)
	s_add_nc_u64 s[42:43], s[10:11], s[42:43]
	s_add_co_u32 s30, s30, s42
	s_cselect_b32 s1, -1, 0
	v_mul_hi_u32 v22, v0, s30
	s_cmp_lg_u32 s1, 0
	s_add_co_ci_u32 s10, s31, s43
	s_and_b64 s[42:43], s[30:31], s[20:21]
	v_mul_u64_e32 v[12:13], s[10:11], v[0:1]
	v_mul_u64_e32 v[8:9], s[42:43], v[14:15]
	;; [unrolled: 1-line block ×3, first 2 shown]
	s_delay_alu instid0(VALU_DEP_3) | instskip(NEXT) | instid1(VALU_DEP_1)
	v_add_nc_u64_e32 v[12:13], v[22:23], v[12:13]
	v_add_co_u32 v3, vcc_lo, v12, v8
	s_delay_alu instid0(VALU_DEP_2) | instskip(NEXT) | instid1(VALU_DEP_4)
	v_add_co_ci_u32_e32 v22, vcc_lo, v13, v9, vcc_lo
	v_add_co_ci_u32_e32 v17, vcc_lo, 0, v17, vcc_lo
	s_delay_alu instid0(VALU_DEP_1) | instskip(NEXT) | instid1(VALU_DEP_1)
	v_add_nc_u64_e32 v[8:9], v[22:23], v[16:17]
	v_mul_u64_e32 v[12:13], s[2:3], v[8:9]
	s_delay_alu instid0(VALU_DEP_1) | instskip(NEXT) | instid1(VALU_DEP_2)
	v_sub_nc_u32_e32 v3, v14, v13
	v_sub_co_u32 v0, vcc_lo, v0, v12
	s_delay_alu instid0(VALU_DEP_1) | instskip(NEXT) | instid1(VALU_DEP_3)
	v_sub_co_ci_u32_e64 v7, null, v14, v13, vcc_lo
	v_subrev_co_ci_u32_e64 v3, null, s3, v3, vcc_lo
	s_delay_alu instid0(VALU_DEP_3) | instskip(SKIP_1) | instid1(VALU_DEP_3)
	v_sub_co_u32 v5, s1, v0, s2
	v_add_nc_u64_e32 v[12:13], 2, v[8:9]
	v_subrev_co_ci_u32_e64 v3, null, 0, v3, s1
	s_delay_alu instid0(VALU_DEP_3) | instskip(SKIP_2) | instid1(VALU_DEP_4)
	v_cmp_le_u32_e32 vcc_lo, s2, v5
	v_add_nc_u64_e32 v[14:15], 1, v[8:9]
	v_cndmask_b32_e64 v5, 0, -1, vcc_lo
	v_cmp_le_u32_e32 vcc_lo, s3, v3
	v_cndmask_b32_e64 v11, 0, -1, vcc_lo
	v_cmp_le_u32_e32 vcc_lo, s2, v0
	;; [unrolled: 2-line block ×3, first 2 shown]
	v_cndmask_b32_e64 v16, 0, -1, vcc_lo
	v_cmp_eq_u32_e32 vcc_lo, s3, v3
	v_cndmask_b32_e32 v3, v11, v5, vcc_lo
	v_cmp_eq_u32_e32 vcc_lo, s3, v7
	s_delay_alu instid0(VALU_DEP_4) | instskip(NEXT) | instid1(VALU_DEP_3)
	v_cndmask_b32_e32 v0, v16, v0, vcc_lo
	v_cmp_ne_u32_e32 vcc_lo, 0, v3
	v_cndmask_b32_e32 v3, v15, v13, vcc_lo
	s_delay_alu instid0(VALU_DEP_3) | instskip(NEXT) | instid1(VALU_DEP_1)
	v_cmp_ne_u32_e64 s1, 0, v0
	v_dual_cndmask_b32 v0, v14, v12, vcc_lo :: v_dual_cndmask_b32 v3, v9, v3, s1
	s_delay_alu instid0(VALU_DEP_1) | instskip(NEXT) | instid1(VALU_DEP_2)
	v_dual_cndmask_b32 v0, v8, v0, s1 :: v_dual_mov_b32 v11, v10
	v_xor_b32_e32 v9, v3, v10
	s_delay_alu instid0(VALU_DEP_2) | instskip(NEXT) | instid1(VALU_DEP_1)
	v_xor_b32_e32 v8, v0, v10
	v_sub_nc_u64_e32 v[10:11], v[8:9], v[10:11]
                                        ; implicit-def: $vgpr8_vgpr9
	s_and_not1_saveexec_b32 s1, s4
	s_cbranch_execz .LBB6_22
.LBB6_24:                               ;   in Loop: Header=BB6_12 Depth=1
	v_mul_hi_u32 v0, v8, v20
	s_delay_alu instid0(VALU_DEP_1) | instskip(NEXT) | instid1(VALU_DEP_1)
	v_mul_lo_u32 v3, v0, s14
	v_dual_add_nc_u32 v5, 1, v0 :: v_dual_sub_nc_u32 v3, v8, v3
	s_delay_alu instid0(VALU_DEP_1) | instskip(SKIP_1) | instid1(VALU_DEP_2)
	v_subrev_nc_u32_e32 v7, s14, v3
	v_cmp_le_u32_e32 vcc_lo, s14, v3
	v_dual_cndmask_b32 v3, v3, v7 :: v_dual_cndmask_b32 v0, v0, v5
	s_delay_alu instid0(VALU_DEP_1) | instskip(NEXT) | instid1(VALU_DEP_2)
	v_cmp_le_u32_e32 vcc_lo, s14, v3
	v_add_nc_u32_e32 v5, 1, v0
	s_delay_alu instid0(VALU_DEP_1)
	v_cndmask_b32_e32 v10, v0, v5, vcc_lo
	s_or_b32 exec_lo, exec_lo, s1
	s_and_saveexec_b32 s29, s0
	s_cbranch_execz .LBB6_11
.LBB6_25:                               ;   in Loop: Header=BB6_12 Depth=1
	v_mad_u32 v0, v4, s18, v6
	v_mul_lo_u32 v4, v2, s9
	s_mov_b32 s42, 0
	v_mov_b32_e32 v8, v18
	s_delay_alu instid0(VALU_DEP_3) | instskip(SKIP_1) | instid1(VALU_DEP_4)
	v_mul_lo_u32 v6, s6, v0
	v_sub_nc_u32_e32 v0, v10, v0
	v_ashrrev_i32_e32 v5, 31, v4
	s_delay_alu instid0(VALU_DEP_1) | instskip(NEXT) | instid1(VALU_DEP_3)
	v_lshl_add_u64 v[4:5], v[4:5], 1, s[24:25]
	v_dual_ashrrev_i32 v7, 31, v6 :: v_dual_add_nc_u32 v3, 1, v0
	s_delay_alu instid0(VALU_DEP_1) | instskip(NEXT) | instid1(VALU_DEP_2)
	v_lshl_add_u64 v[6:7], v[6:7], 1, s[22:23]
	v_cvt_f32_i32_e32 v0, v3
	v_cmp_lt_i32_e64 s1, 0, v3
	s_delay_alu instid0(VALU_DEP_2)
	v_cvt_f16_f32_e32 v21, v0
	s_branch .LBB6_27
.LBB6_26:                               ;   in Loop: Header=BB6_27 Depth=2
	v_add_nc_u32_e32 v8, s34, v8
	s_delay_alu instid0(VALU_DEP_1) | instskip(SKIP_1) | instid1(SALU_CYCLE_1)
	v_cmp_le_i32_e32 vcc_lo, s9, v8
	s_or_b32 s42, vcc_lo, s42
	s_and_not1_b32 exec_lo, exec_lo, s42
	s_cbranch_execz .LBB6_11
.LBB6_27:                               ;   Parent Loop BB6_12 Depth=1
                                        ; =>  This Loop Header: Depth=2
                                        ;       Child Loop BB6_38 Depth 3
                                        ;         Child Loop BB6_41 Depth 4
                                        ;           Child Loop BB6_44 Depth 5
                                        ;             Child Loop BB6_46 Depth 6
	v_mov_b32_e32 v9, v1
	s_delay_alu instid0(VALU_DEP_1) | instskip(NEXT) | instid1(VALU_DEP_1)
	v_mul_u64_e32 v[10:11], s[26:27], v[8:9]
	v_mul_lo_u32 v0, v11, s38
	s_delay_alu instid0(VALU_DEP_1) | instskip(NEXT) | instid1(VALU_DEP_1)
	v_sub_nc_u32_e32 v0, v8, v0
	v_subrev_nc_u32_e32 v12, s38, v0
	v_cmp_le_u32_e32 vcc_lo, s38, v0
	s_delay_alu instid0(VALU_DEP_2) | instskip(NEXT) | instid1(VALU_DEP_1)
	v_dual_add_nc_u32 v10, 1, v11 :: v_dual_cndmask_b32 v0, v0, v12, vcc_lo
	v_cndmask_b32_e32 v10, v11, v10, vcc_lo
	s_delay_alu instid0(VALU_DEP_2) | instskip(NEXT) | instid1(VALU_DEP_2)
	v_cmp_le_u32_e32 vcc_lo, s38, v0
	v_add_nc_u32_e32 v11, 1, v10
	s_delay_alu instid0(VALU_DEP_1) | instskip(NEXT) | instid1(VALU_DEP_1)
	v_cndmask_b32_e32 v0, v10, v11, vcc_lo
	v_xor_b32_e32 v0, s17, v0
	s_delay_alu instid0(VALU_DEP_1) | instskip(NEXT) | instid1(VALU_DEP_1)
	v_subrev_nc_u32_e32 v10, s17, v0
	v_ashrrev_i32_e32 v11, 31, v10
	s_delay_alu instid0(VALU_DEP_1) | instskip(NEXT) | instid1(VALU_DEP_1)
	v_mul_u64_e32 v[12:13], s[16:17], v[10:11]
	v_sub_nc_u64_e32 v[12:13], v[8:9], v[12:13]
	s_delay_alu instid0(VALU_DEP_1) | instskip(NEXT) | instid1(VALU_DEP_1)
	v_mul_u64_e32 v[14:15], s[6:7], v[12:13]
	v_dual_mov_b32 v12, v1 :: v_dual_bitop2_b32 v13, s17, v15 bitop3:0x54
	s_delay_alu instid0(VALU_DEP_1) | instskip(SKIP_1) | instid1(SALU_CYCLE_1)
	v_cmp_ne_u64_e32 vcc_lo, 0, v[12:13]
                                        ; implicit-def: $vgpr12_vgpr13
	s_and_saveexec_b32 s2, vcc_lo
	s_xor_b32 s3, exec_lo, s2
	s_cbranch_execz .LBB6_29
; %bb.28:                               ;   in Loop: Header=BB6_27 Depth=2
	s_ashr_i32 s4, s17, 31
	v_dual_mov_b32 v23, v1 :: v_dual_ashrrev_i32 v12, 31, v15
	s_mov_b32 s5, s4
	v_mov_b32_e32 v27, v1
	s_add_nc_u64 s[30:31], s[16:17], s[4:5]
	s_delay_alu instid0(VALU_DEP_2) | instskip(SKIP_1) | instid1(SALU_CYCLE_1)
	v_mov_b32_e32 v13, v12
	s_xor_b64 s[30:31], s[30:31], s[4:5]
	s_cvt_f32_u32 s2, s30
	s_cvt_f32_u32 s5, s31
	s_sub_nc_u64 s[46:47], 0, s[30:31]
	v_add_nc_u64_e32 v[14:15], v[14:15], v[12:13]
	s_delay_alu instid0(SALU_CYCLE_1) | instskip(NEXT) | instid1(SALU_CYCLE_3)
	s_fmamk_f32 s2, s5, 0x4f800000, s2
	v_s_rcp_f32 s2, s2
	s_delay_alu instid0(VALU_DEP_1) | instskip(NEXT) | instid1(VALU_DEP_2)
	v_xor_b32_e32 v0, v14, v12
	v_xor_b32_e32 v22, v15, v12
	;; [unrolled: 1-line block ×3, first 2 shown]
	s_delay_alu instid0(TRANS32_DEP_1) | instskip(NEXT) | instid1(SALU_CYCLE_3)
	s_mul_f32 s2, s2, 0x5f7ffffc
	s_mul_f32 s5, s2, 0x2f800000
	s_delay_alu instid0(SALU_CYCLE_3) | instskip(NEXT) | instid1(SALU_CYCLE_3)
	s_trunc_f32 s5, s5
	s_fmamk_f32 s2, s5, 0xcf800000, s2
	s_cvt_u32_f32 s45, s5
	s_delay_alu instid0(SALU_CYCLE_2) | instskip(NEXT) | instid1(SALU_CYCLE_3)
	s_cvt_u32_f32 s44, s2
	s_mul_u64 s[48:49], s[46:47], s[44:45]
	s_delay_alu instid0(SALU_CYCLE_1)
	s_mul_hi_u32 s51, s44, s49
	s_mul_i32 s50, s44, s49
	s_mul_hi_u32 s10, s44, s48
	s_mul_i32 s5, s45, s48
	s_add_nc_u64 s[50:51], s[10:11], s[50:51]
	s_mul_hi_u32 s2, s45, s48
	s_mul_hi_u32 s43, s45, s49
	s_add_co_u32 s5, s50, s5
	s_add_co_ci_u32 s10, s51, s2
	s_mul_i32 s48, s45, s49
	s_add_co_ci_u32 s49, s43, 0
	s_delay_alu instid0(SALU_CYCLE_1) | instskip(NEXT) | instid1(SALU_CYCLE_1)
	s_add_nc_u64 s[48:49], s[10:11], s[48:49]
	s_add_co_u32 s44, s44, s48
	s_cselect_b32 s2, -1, 0
	s_delay_alu instid0(SALU_CYCLE_1) | instskip(SKIP_1) | instid1(SALU_CYCLE_1)
	s_cmp_lg_u32 s2, 0
	s_add_co_ci_u32 s45, s45, s49
	s_mul_u64 s[46:47], s[46:47], s[44:45]
	s_delay_alu instid0(SALU_CYCLE_1)
	s_mul_hi_u32 s49, s44, s47
	s_mul_i32 s48, s44, s47
	s_mul_hi_u32 s10, s44, s46
	s_mul_i32 s5, s45, s46
	s_add_nc_u64 s[48:49], s[10:11], s[48:49]
	s_mul_hi_u32 s2, s45, s46
	s_mul_hi_u32 s43, s45, s47
	s_add_co_u32 s5, s48, s5
	s_add_co_ci_u32 s10, s49, s2
	s_mul_i32 s46, s45, s47
	s_add_co_ci_u32 s47, s43, 0
	s_delay_alu instid0(SALU_CYCLE_1) | instskip(NEXT) | instid1(SALU_CYCLE_1)
	s_add_nc_u64 s[46:47], s[10:11], s[46:47]
	s_add_co_u32 s2, s44, s46
	s_cselect_b32 s5, -1, 0
	v_mul_hi_u32 v26, v0, s2
	s_cmp_lg_u32 s5, 0
	s_add_co_ci_u32 s10, s45, s47
	s_and_b64 s[44:45], s[2:3], s[20:21]
	v_mul_u64_e32 v[16:17], s[10:11], v[0:1]
	v_mul_u64_e32 v[14:15], s[44:45], v[22:23]
	v_mul_u64_e32 v[24:25], s[10:11], v[22:23]
	s_delay_alu instid0(VALU_DEP_3) | instskip(NEXT) | instid1(VALU_DEP_1)
	v_add_nc_u64_e32 v[16:17], v[26:27], v[16:17]
	v_add_co_u32 v11, vcc_lo, v16, v14
	s_delay_alu instid0(VALU_DEP_2) | instskip(NEXT) | instid1(VALU_DEP_4)
	v_add_co_ci_u32_e32 v26, vcc_lo, v17, v15, vcc_lo
	v_add_co_ci_u32_e32 v25, vcc_lo, 0, v25, vcc_lo
	s_delay_alu instid0(VALU_DEP_1) | instskip(NEXT) | instid1(VALU_DEP_1)
	v_add_nc_u64_e32 v[14:15], v[26:27], v[24:25]
	v_mul_u64_e32 v[16:17], s[30:31], v[14:15]
	s_delay_alu instid0(VALU_DEP_1) | instskip(NEXT) | instid1(VALU_DEP_2)
	v_sub_nc_u32_e32 v11, v22, v17
	v_sub_co_u32 v0, vcc_lo, v0, v16
	s_delay_alu instid0(VALU_DEP_1) | instskip(NEXT) | instid1(VALU_DEP_3)
	v_sub_co_ci_u32_e64 v24, null, v22, v17, vcc_lo
	v_subrev_co_ci_u32_e64 v11, null, s31, v11, vcc_lo
	s_delay_alu instid0(VALU_DEP_3) | instskip(SKIP_1) | instid1(VALU_DEP_3)
	v_sub_co_u32 v13, s2, v0, s30
	v_add_nc_u64_e32 v[22:23], 1, v[14:15]
	v_subrev_co_ci_u32_e64 v11, null, 0, v11, s2
	s_delay_alu instid0(VALU_DEP_3) | instskip(SKIP_1) | instid1(VALU_DEP_3)
	v_cmp_le_u32_e32 vcc_lo, s30, v13
	v_cndmask_b32_e64 v13, 0, -1, vcc_lo
	v_cmp_le_u32_e32 vcc_lo, s31, v11
	v_cndmask_b32_e64 v16, 0, -1, vcc_lo
	;; [unrolled: 2-line block ×4, first 2 shown]
	v_cmp_eq_u32_e32 vcc_lo, s31, v11
	v_cndmask_b32_e32 v11, v16, v13, vcc_lo
	v_cmp_eq_u32_e32 vcc_lo, s31, v24
	v_add_nc_u64_e32 v[16:17], 2, v[14:15]
	v_cndmask_b32_e32 v0, v25, v0, vcc_lo
	s_delay_alu instid0(VALU_DEP_4) | instskip(NEXT) | instid1(VALU_DEP_2)
	v_cmp_ne_u32_e32 vcc_lo, 0, v11
	v_cmp_ne_u32_e64 s2, 0, v0
	s_delay_alu instid0(VALU_DEP_4) | instskip(NEXT) | instid1(VALU_DEP_1)
	v_dual_cndmask_b32 v11, v23, v17 :: v_dual_cndmask_b32 v0, v22, v16
	v_dual_cndmask_b32 v11, v15, v11, s2 :: v_dual_cndmask_b32 v0, v14, v0, s2
	s_delay_alu instid0(VALU_DEP_1) | instskip(NEXT) | instid1(VALU_DEP_2)
	v_dual_mov_b32 v13, v12 :: v_dual_bitop2_b32 v15, v11, v12 bitop3:0x14
	v_xor_b32_e32 v14, v0, v12
	s_delay_alu instid0(VALU_DEP_1)
	v_sub_nc_u64_e32 v[12:13], v[14:15], v[12:13]
                                        ; implicit-def: $vgpr14_vgpr15
.LBB6_29:                               ;   in Loop: Header=BB6_27 Depth=2
	s_and_not1_saveexec_b32 s2, s3
	s_cbranch_execz .LBB6_31
; %bb.30:                               ;   in Loop: Header=BB6_27 Depth=2
	v_cvt_f32_u32_e32 v0, s16
	s_sub_co_i32 s3, 0, s16
	s_delay_alu instid0(VALU_DEP_1) | instskip(SKIP_1) | instid1(TRANS32_DEP_1)
	v_rcp_iflag_f32_e32 v0, v0
	v_nop
	v_mul_f32_e32 v0, 0x4f7ffffe, v0
	s_delay_alu instid0(VALU_DEP_1) | instskip(NEXT) | instid1(VALU_DEP_1)
	v_cvt_u32_f32_e32 v0, v0
	v_mul_lo_u32 v11, s3, v0
	s_delay_alu instid0(VALU_DEP_1) | instskip(NEXT) | instid1(VALU_DEP_1)
	v_mul_hi_u32 v11, v0, v11
	v_add_nc_u32_e32 v0, v0, v11
	s_delay_alu instid0(VALU_DEP_1) | instskip(NEXT) | instid1(VALU_DEP_1)
	v_mul_hi_u32 v0, v14, v0
	v_mul_lo_u32 v11, v0, s16
	s_delay_alu instid0(VALU_DEP_1) | instskip(NEXT) | instid1(VALU_DEP_1)
	v_dual_add_nc_u32 v12, 1, v0 :: v_dual_sub_nc_u32 v11, v14, v11
	v_subrev_nc_u32_e32 v13, s16, v11
	v_cmp_le_u32_e32 vcc_lo, s16, v11
	s_delay_alu instid0(VALU_DEP_2) | instskip(NEXT) | instid1(VALU_DEP_1)
	v_dual_cndmask_b32 v11, v11, v13 :: v_dual_cndmask_b32 v0, v0, v12
	v_cmp_le_u32_e32 vcc_lo, s16, v11
	s_delay_alu instid0(VALU_DEP_2) | instskip(NEXT) | instid1(VALU_DEP_1)
	v_add_nc_u32_e32 v12, 1, v0
	v_cndmask_b32_e32 v0, v0, v12, vcc_lo
	s_delay_alu instid0(VALU_DEP_1)
	v_mov_b64_e32 v[12:13], v[0:1]
.LBB6_31:                               ;   in Loop: Header=BB6_27 Depth=2
	s_or_b32 exec_lo, exec_lo, s2
	v_dual_add_nc_u32 v0, 1, v8 :: v_dual_mov_b32 v16, v1
	s_delay_alu instid0(VALU_DEP_1) | instskip(NEXT) | instid1(VALU_DEP_1)
	v_mad_nc_u64_u32 v[14:15], v0, s6, -1
	v_mad_u32 v15, v0, s7, v15
	s_delay_alu instid0(VALU_DEP_1) | instskip(NEXT) | instid1(VALU_DEP_1)
	v_or_b32_e32 v17, s17, v15
	v_cmp_ne_u64_e32 vcc_lo, 0, v[16:17]
                                        ; implicit-def: $vgpr16_vgpr17
	s_and_saveexec_b32 s2, vcc_lo
	s_delay_alu instid0(SALU_CYCLE_1)
	s_xor_b32 s3, exec_lo, s2
	s_cbranch_execnz .LBB6_34
; %bb.32:                               ;   in Loop: Header=BB6_27 Depth=2
	s_and_not1_saveexec_b32 s2, s3
	s_cbranch_execnz .LBB6_35
.LBB6_33:                               ;   in Loop: Header=BB6_27 Depth=2
	s_or_b32 exec_lo, exec_lo, s2
	s_delay_alu instid0(SALU_CYCLE_1)
	s_and_not1_b32 vcc_lo, exec_lo, s35
	s_cbranch_vccz .LBB6_36
	s_branch .LBB6_26
.LBB6_34:                               ;   in Loop: Header=BB6_27 Depth=2
	s_ashr_i32 s4, s17, 31
	v_dual_mov_b32 v25, v1 :: v_dual_ashrrev_i32 v16, 31, v15
	s_mov_b32 s5, s4
	v_mov_b32_e32 v29, v1
	s_add_nc_u64 s[30:31], s[16:17], s[4:5]
	s_delay_alu instid0(VALU_DEP_2) | instskip(SKIP_1) | instid1(SALU_CYCLE_1)
	v_mov_b32_e32 v17, v16
	s_xor_b64 s[30:31], s[30:31], s[4:5]
	s_cvt_f32_u32 s2, s30
	s_cvt_f32_u32 s5, s31
	s_sub_nc_u64 s[46:47], 0, s[30:31]
	v_add_nc_u64_e32 v[14:15], v[14:15], v[16:17]
	s_delay_alu instid0(SALU_CYCLE_1) | instskip(NEXT) | instid1(SALU_CYCLE_3)
	s_fmamk_f32 s2, s5, 0x4f800000, s2
	v_s_rcp_f32 s2, s2
	s_delay_alu instid0(VALU_DEP_1) | instskip(NEXT) | instid1(VALU_DEP_2)
	v_xor_b32_e32 v0, v14, v16
	v_xor_b32_e32 v24, v15, v16
	;; [unrolled: 1-line block ×3, first 2 shown]
	s_delay_alu instid0(TRANS32_DEP_1) | instskip(NEXT) | instid1(SALU_CYCLE_3)
	s_mul_f32 s2, s2, 0x5f7ffffc
	s_mul_f32 s5, s2, 0x2f800000
	s_delay_alu instid0(SALU_CYCLE_3) | instskip(NEXT) | instid1(SALU_CYCLE_3)
	s_trunc_f32 s5, s5
	s_fmamk_f32 s2, s5, 0xcf800000, s2
	s_cvt_u32_f32 s45, s5
	s_delay_alu instid0(SALU_CYCLE_2) | instskip(NEXT) | instid1(SALU_CYCLE_3)
	s_cvt_u32_f32 s44, s2
	s_mul_u64 s[48:49], s[46:47], s[44:45]
	s_delay_alu instid0(SALU_CYCLE_1)
	s_mul_hi_u32 s51, s44, s49
	s_mul_i32 s50, s44, s49
	s_mul_hi_u32 s10, s44, s48
	s_mul_i32 s5, s45, s48
	s_add_nc_u64 s[50:51], s[10:11], s[50:51]
	s_mul_hi_u32 s2, s45, s48
	s_mul_hi_u32 s43, s45, s49
	s_add_co_u32 s5, s50, s5
	s_add_co_ci_u32 s10, s51, s2
	s_mul_i32 s48, s45, s49
	s_add_co_ci_u32 s49, s43, 0
	s_delay_alu instid0(SALU_CYCLE_1) | instskip(NEXT) | instid1(SALU_CYCLE_1)
	s_add_nc_u64 s[48:49], s[10:11], s[48:49]
	s_add_co_u32 s44, s44, s48
	s_cselect_b32 s2, -1, 0
	s_delay_alu instid0(SALU_CYCLE_1) | instskip(SKIP_1) | instid1(SALU_CYCLE_1)
	s_cmp_lg_u32 s2, 0
	s_add_co_ci_u32 s45, s45, s49
	s_mul_u64 s[46:47], s[46:47], s[44:45]
	s_delay_alu instid0(SALU_CYCLE_1)
	s_mul_hi_u32 s49, s44, s47
	s_mul_i32 s48, s44, s47
	s_mul_hi_u32 s10, s44, s46
	s_mul_i32 s5, s45, s46
	s_add_nc_u64 s[48:49], s[10:11], s[48:49]
	s_mul_hi_u32 s2, s45, s46
	s_mul_hi_u32 s43, s45, s47
	s_add_co_u32 s5, s48, s5
	s_add_co_ci_u32 s10, s49, s2
	s_mul_i32 s46, s45, s47
	s_add_co_ci_u32 s47, s43, 0
	s_delay_alu instid0(SALU_CYCLE_1) | instskip(NEXT) | instid1(SALU_CYCLE_1)
	s_add_nc_u64 s[46:47], s[10:11], s[46:47]
	s_add_co_u32 s2, s44, s46
	s_cselect_b32 s5, -1, 0
	v_mul_hi_u32 v28, v0, s2
	s_cmp_lg_u32 s5, 0
	s_add_co_ci_u32 s10, s45, s47
	s_and_b64 s[44:45], s[2:3], s[20:21]
	v_mul_u64_e32 v[22:23], s[10:11], v[0:1]
	v_mul_u64_e32 v[14:15], s[44:45], v[24:25]
	v_mul_u64_e32 v[26:27], s[10:11], v[24:25]
	s_delay_alu instid0(VALU_DEP_3) | instskip(NEXT) | instid1(VALU_DEP_1)
	v_add_nc_u64_e32 v[22:23], v[28:29], v[22:23]
	v_add_co_u32 v11, vcc_lo, v22, v14
	s_delay_alu instid0(VALU_DEP_2) | instskip(NEXT) | instid1(VALU_DEP_4)
	v_add_co_ci_u32_e32 v28, vcc_lo, v23, v15, vcc_lo
	v_add_co_ci_u32_e32 v27, vcc_lo, 0, v27, vcc_lo
	s_delay_alu instid0(VALU_DEP_1) | instskip(NEXT) | instid1(VALU_DEP_1)
	v_add_nc_u64_e32 v[14:15], v[28:29], v[26:27]
	v_mul_u64_e32 v[22:23], s[30:31], v[14:15]
	s_delay_alu instid0(VALU_DEP_1) | instskip(NEXT) | instid1(VALU_DEP_2)
	v_sub_nc_u32_e32 v11, v24, v23
	v_sub_co_u32 v0, vcc_lo, v0, v22
	s_delay_alu instid0(VALU_DEP_1) | instskip(NEXT) | instid1(VALU_DEP_3)
	v_sub_co_ci_u32_e64 v26, null, v24, v23, vcc_lo
	v_subrev_co_ci_u32_e64 v11, null, s31, v11, vcc_lo
	s_delay_alu instid0(VALU_DEP_3) | instskip(SKIP_1) | instid1(VALU_DEP_3)
	v_sub_co_u32 v17, s2, v0, s30
	v_add_nc_u64_e32 v[24:25], 1, v[14:15]
	v_subrev_co_ci_u32_e64 v11, null, 0, v11, s2
	s_delay_alu instid0(VALU_DEP_3) | instskip(SKIP_1) | instid1(VALU_DEP_3)
	v_cmp_le_u32_e32 vcc_lo, s30, v17
	v_cndmask_b32_e64 v17, 0, -1, vcc_lo
	v_cmp_le_u32_e32 vcc_lo, s31, v11
	v_cndmask_b32_e64 v22, 0, -1, vcc_lo
	;; [unrolled: 2-line block ×4, first 2 shown]
	v_cmp_eq_u32_e32 vcc_lo, s31, v11
	v_cndmask_b32_e32 v11, v22, v17, vcc_lo
	v_cmp_eq_u32_e32 vcc_lo, s31, v26
	v_add_nc_u64_e32 v[22:23], 2, v[14:15]
	v_cndmask_b32_e32 v0, v27, v0, vcc_lo
	s_delay_alu instid0(VALU_DEP_4) | instskip(NEXT) | instid1(VALU_DEP_2)
	v_cmp_ne_u32_e32 vcc_lo, 0, v11
	v_cmp_ne_u32_e64 s2, 0, v0
	s_delay_alu instid0(VALU_DEP_4) | instskip(NEXT) | instid1(VALU_DEP_1)
	v_dual_cndmask_b32 v11, v25, v23 :: v_dual_cndmask_b32 v0, v24, v22
	v_dual_cndmask_b32 v11, v15, v11, s2 :: v_dual_cndmask_b32 v0, v14, v0, s2
	s_delay_alu instid0(VALU_DEP_1) | instskip(NEXT) | instid1(VALU_DEP_2)
	v_dual_mov_b32 v17, v16 :: v_dual_bitop2_b32 v15, v11, v16 bitop3:0x14
	v_xor_b32_e32 v14, v0, v16
	s_delay_alu instid0(VALU_DEP_1)
	v_sub_nc_u64_e32 v[16:17], v[14:15], v[16:17]
                                        ; implicit-def: $vgpr14_vgpr15
	s_and_not1_saveexec_b32 s2, s3
	s_cbranch_execz .LBB6_33
.LBB6_35:                               ;   in Loop: Header=BB6_27 Depth=2
	v_cvt_f32_u32_e32 v0, s16
	s_sub_co_i32 s3, 0, s16
	s_delay_alu instid0(VALU_DEP_1) | instskip(SKIP_1) | instid1(TRANS32_DEP_1)
	v_rcp_iflag_f32_e32 v0, v0
	v_nop
	v_mul_f32_e32 v0, 0x4f7ffffe, v0
	s_delay_alu instid0(VALU_DEP_1) | instskip(NEXT) | instid1(VALU_DEP_1)
	v_cvt_u32_f32_e32 v0, v0
	v_mul_lo_u32 v11, s3, v0
	s_delay_alu instid0(VALU_DEP_1) | instskip(NEXT) | instid1(VALU_DEP_1)
	v_mul_hi_u32 v11, v0, v11
	v_add_nc_u32_e32 v0, v0, v11
	s_delay_alu instid0(VALU_DEP_1) | instskip(NEXT) | instid1(VALU_DEP_1)
	v_mul_hi_u32 v0, v14, v0
	v_mul_lo_u32 v11, v0, s16
	s_delay_alu instid0(VALU_DEP_1) | instskip(NEXT) | instid1(VALU_DEP_1)
	v_sub_nc_u32_e32 v11, v14, v11
	v_subrev_nc_u32_e32 v15, s16, v11
	v_cmp_le_u32_e32 vcc_lo, s16, v11
	s_delay_alu instid0(VALU_DEP_2) | instskip(NEXT) | instid1(VALU_DEP_1)
	v_dual_cndmask_b32 v11, v11, v15 :: v_dual_add_nc_u32 v14, 1, v0
	v_cndmask_b32_e32 v0, v0, v14, vcc_lo
	s_delay_alu instid0(VALU_DEP_2) | instskip(NEXT) | instid1(VALU_DEP_2)
	v_cmp_le_u32_e32 vcc_lo, s16, v11
	v_add_nc_u32_e32 v14, 1, v0
	s_delay_alu instid0(VALU_DEP_1) | instskip(SKIP_1) | instid1(SALU_CYCLE_1)
	v_cndmask_b32_e32 v16, v0, v14, vcc_lo
	s_or_b32 exec_lo, exec_lo, s2
	s_and_not1_b32 vcc_lo, exec_lo, s35
	s_cbranch_vccnz .LBB6_26
.LBB6_36:                               ;   in Loop: Header=BB6_27 Depth=2
	v_lshl_add_u64 v[14:15], v[8:9], 1, v[4:5]
	s_cvt_f32_f16 s2, s39
	s_mov_b32 s5, 0
	s_delay_alu instid0(SALU_CYCLE_2) | instskip(SKIP_3) | instid1(VALU_DEP_1)
	v_s_rcp_f32 s2, s2
	global_load_u16 v0, v[14:15], off
	s_wait_loadcnt 0x0
	v_cvt_f32_f16_e32 v9, v0
	v_mul_f32_e32 v9, s2, v9
	s_delay_alu instid0(VALU_DEP_1) | instskip(NEXT) | instid1(VALU_DEP_1)
	v_fma_mix_f32 v11, -s39, v9, v0 op_sel_hi:[1,0,1]
	v_fmac_f32_e32 v9, s2, v11
	s_delay_alu instid0(VALU_DEP_1) | instskip(NEXT) | instid1(VALU_DEP_1)
	v_fma_mix_f32 v11, -s39, v9, v0 op_sel_hi:[1,0,1]
	v_mul_f32_e32 v11, s2, v11
	s_delay_alu instid0(VALU_DEP_1) | instskip(NEXT) | instid1(VALU_DEP_1)
	v_and_b32_e32 v11, 0xff800000, v11
	v_add_f32_e32 v9, v11, v9
	v_cvt_f32_f16_e32 v11, v21
	s_delay_alu instid0(VALU_DEP_2) | instskip(NEXT) | instid1(VALU_DEP_1)
	v_cvt_f16_f32_e32 v9, v9
	v_div_fixup_f16 v0, v9, s39, v0
	s_delay_alu instid0(VALU_DEP_3) | instskip(SKIP_1) | instid1(VALU_DEP_2)
	v_rcp_f32_e32 v9, v11
	v_nop
	v_cvt_f32_f16_e32 v11, v0
	s_delay_alu instid0(TRANS32_DEP_1) | instid1(VALU_DEP_1)
	v_mul_f32_e32 v14, v11, v9
	v_mad_nc_i64_i32 v[10:11], v10, s6, v[12:13]
	s_delay_alu instid0(VALU_DEP_2) | instskip(NEXT) | instid1(VALU_DEP_1)
	v_fma_mix_f32 v15, -v21, v14, v0 op_sel_hi:[1,0,1]
	v_dual_sub_nc_u32 v12, v16, v10 :: v_dual_fmac_f32 v14, v15, v9
	s_delay_alu instid0(VALU_DEP_1) | instskip(NEXT) | instid1(VALU_DEP_1)
	v_fma_mix_f32 v11, -v21, v14, v0 op_sel_hi:[1,0,1]
	v_dual_mul_f32 v11, v11, v9 :: v_dual_add_nc_u32 v9, 1, v12
	s_delay_alu instid0(VALU_DEP_1) | instskip(NEXT) | instid1(VALU_DEP_2)
	v_and_b32_e32 v11, 0xff800000, v11
	v_cvt_f32_i32_e32 v12, v9
	v_cmp_lt_i32_e32 vcc_lo, 0, v9
	s_delay_alu instid0(VALU_DEP_3) | instskip(NEXT) | instid1(VALU_DEP_3)
	v_add_f32_e32 v11, v11, v14
	v_cvt_f16_f32_e32 v14, v12
	s_delay_alu instid0(VALU_DEP_2) | instskip(NEXT) | instid1(VALU_DEP_2)
	v_cvt_f16_f32_e32 v11, v11
	v_cvt_f32_f16_e32 v12, v14
	s_delay_alu instid0(VALU_DEP_2) | instskip(NEXT) | instid1(VALU_DEP_2)
	v_div_fixup_f16 v0, v11, v21, v0
	v_rcp_f32_e32 v11, v12
	v_nop
	s_delay_alu instid0(VALU_DEP_2)
	v_cvt_f32_f16_e32 v12, v0
	s_delay_alu instid0(TRANS32_DEP_1) | instid1(VALU_DEP_1)
	v_mul_f32_e32 v15, v12, v11
	s_delay_alu instid0(VALU_DEP_1) | instskip(NEXT) | instid1(VALU_DEP_1)
	v_fma_mix_f32 v12, -v14, v15, v0 op_sel_hi:[1,0,1]
	v_fmac_f32_e32 v15, v12, v11
	s_delay_alu instid0(VALU_DEP_1) | instskip(NEXT) | instid1(VALU_DEP_1)
	v_fma_mix_f32 v12, -v14, v15, v0 op_sel_hi:[1,0,1]
	v_dual_mul_f32 v11, v12, v11 :: v_dual_mov_b32 v12, v1
	s_delay_alu instid0(VALU_DEP_1) | instskip(NEXT) | instid1(VALU_DEP_1)
	v_and_b32_e32 v11, 0xff800000, v11
	v_dual_mov_b32 v13, v10 :: v_dual_add_f32 v15, v11, v15
	s_delay_alu instid0(VALU_DEP_1) | instskip(NEXT) | instid1(VALU_DEP_2)
	v_ashrrev_i64 v[10:11], 31, v[12:13]
	v_cvt_f16_f32_e32 v12, v15
	s_delay_alu instid0(VALU_DEP_2) | instskip(NEXT) | instid1(VALU_DEP_2)
	v_add_nc_u64_e32 v[10:11], v[6:7], v[10:11]
	v_div_fixup_f16 v16, v12, v14, v0
	s_branch .LBB6_38
.LBB6_37:                               ;   in Loop: Header=BB6_38 Depth=3
	s_or_b32 exec_lo, exec_lo, s10
	s_delay_alu instid0(VALU_DEP_1) | instskip(SKIP_1) | instid1(SALU_CYCLE_1)
	v_lshl_add_u64 v[10:11], s[12:13], 1, v[10:11]
	s_add_co_i32 s5, s5, 1
	s_cmp_lt_i32 s5, s33
	s_cbranch_scc0 .LBB6_26
.LBB6_38:                               ;   Parent Loop BB6_12 Depth=1
                                        ;     Parent Loop BB6_27 Depth=2
                                        ; =>    This Loop Header: Depth=3
                                        ;         Child Loop BB6_41 Depth 4
                                        ;           Child Loop BB6_44 Depth 5
                                        ;             Child Loop BB6_46 Depth 6
	s_and_saveexec_b32 s10, s1
	s_cbranch_execz .LBB6_37
; %bb.39:                               ;   in Loop: Header=BB6_38 Depth=3
	s_mov_b32 s30, 0
	s_mov_b32 s31, 0
	s_branch .LBB6_41
.LBB6_40:                               ;   in Loop: Header=BB6_41 Depth=4
	s_or_b32 exec_lo, exec_lo, s43
	s_add_co_i32 s31, s31, 1
	s_delay_alu instid0(SALU_CYCLE_1) | instskip(SKIP_1) | instid1(SALU_CYCLE_1)
	v_cmp_ge_i32_e64 s2, s31, v3
	s_or_b32 s30, s2, s30
	s_and_not1_b32 exec_lo, exec_lo, s30
	s_cbranch_execz .LBB6_37
.LBB6_41:                               ;   Parent Loop BB6_12 Depth=1
                                        ;     Parent Loop BB6_27 Depth=2
                                        ;       Parent Loop BB6_38 Depth=3
                                        ; =>      This Loop Header: Depth=4
                                        ;           Child Loop BB6_44 Depth 5
                                        ;             Child Loop BB6_46 Depth 6
	s_and_saveexec_b32 s43, vcc_lo
	s_cbranch_execz .LBB6_40
; %bb.42:                               ;   in Loop: Header=BB6_41 Depth=4
	s_mul_i32 s44, s31, s6
	s_mov_b32 s45, 0
	s_mov_b32 s46, 0
	s_branch .LBB6_44
.LBB6_43:                               ;   in Loop: Header=BB6_44 Depth=5
	s_or_b32 exec_lo, exec_lo, s47
	s_add_co_i32 s46, s46, 1
	s_delay_alu instid0(SALU_CYCLE_1) | instskip(SKIP_1) | instid1(SALU_CYCLE_1)
	v_cmp_ge_i32_e64 s2, s46, v9
	s_or_b32 s45, s2, s45
	s_and_not1_b32 exec_lo, exec_lo, s45
	s_cbranch_execz .LBB6_40
.LBB6_44:                               ;   Parent Loop BB6_12 Depth=1
                                        ;     Parent Loop BB6_27 Depth=2
                                        ;       Parent Loop BB6_38 Depth=3
                                        ;         Parent Loop BB6_41 Depth=4
                                        ; =>        This Loop Header: Depth=5
                                        ;             Child Loop BB6_46 Depth 6
	s_add_co_i32 s2, s46, s44
	s_mov_b32 s47, 0
	s_ashr_i32 s3, s2, 31
	s_delay_alu instid0(SALU_CYCLE_1) | instskip(NEXT) | instid1(VALU_DEP_1)
	v_lshl_add_u64 v[12:13], s[2:3], 1, v[10:11]
	v_and_b32_e32 v0, 2, v12
	s_delay_alu instid0(VALU_DEP_1) | instskip(SKIP_2) | instid1(VALU_DEP_3)
	v_sub_nc_u64_e32 v[14:15], 0, v[0:1]
	v_cmp_eq_u64_e64 s2, 0, v[0:1]
	v_cmp_ne_u32_e64 s3, 0, v0
	v_add_nc_u64_e32 v[12:13], v[12:13], v[14:15]
	global_load_b32 v15, v[12:13], off
	s_branch .LBB6_46
.LBB6_45:                               ;   in Loop: Header=BB6_46 Depth=6
	s_or_b32 exec_lo, exec_lo, s4
	global_atomic_cmpswap_b32 v0, v[12:13], v[14:15], off th:TH_ATOMIC_RETURN scope:SCOPE_DEV
	s_wait_loadcnt 0x0
	v_cmp_eq_u32_e64 s4, v15, v0
	v_mov_b32_e32 v15, v0
	s_or_b32 s47, s4, s47
	s_delay_alu instid0(SALU_CYCLE_1)
	s_and_not1_b32 exec_lo, exec_lo, s47
	s_cbranch_execz .LBB6_43
.LBB6_46:                               ;   Parent Loop BB6_12 Depth=1
                                        ;     Parent Loop BB6_27 Depth=2
                                        ;       Parent Loop BB6_38 Depth=3
                                        ;         Parent Loop BB6_41 Depth=4
                                        ;           Parent Loop BB6_44 Depth=5
                                        ; =>          This Inner Loop Header: Depth=6
	s_wait_loadcnt 0x0
	v_lshrrev_b32_e32 v0, 16, v15
	s_delay_alu instid0(VALU_DEP_1) | instskip(NEXT) | instid1(VALU_DEP_1)
	v_cndmask_b32_e64 v0, v0, v15, s2
	v_add_f16_e32 v0, v16, v0
	s_delay_alu instid0(VALU_DEP_1) | instskip(SKIP_1) | instid1(SALU_CYCLE_1)
	v_and_b32_e32 v0, 0xffff, v0
	s_and_saveexec_b32 s4, s3
	s_xor_b32 s4, exec_lo, s4
; %bb.47:                               ;   in Loop: Header=BB6_46 Depth=6
	v_and_b32_e32 v14, 0xffff, v15
	s_delay_alu instid0(VALU_DEP_1)
	v_lshl_or_b32 v14, v0, 16, v14
                                        ; implicit-def: $vgpr0
; %bb.48:                               ;   in Loop: Header=BB6_46 Depth=6
	s_and_not1_saveexec_b32 s4, s4
	s_cbranch_execz .LBB6_45
; %bb.49:                               ;   in Loop: Header=BB6_46 Depth=6
	v_and_or_b32 v14, 0xffff0000, v15, v0
	s_branch .LBB6_45
.LBB6_50:
	s_endpgm
.LBB6_51:
                                        ; implicit-def: $sgpr12_sgpr13
	s_branch .LBB6_2
.LBB6_52:
                                        ; implicit-def: $sgpr16_sgpr17
	s_branch .LBB6_5
.LBB6_53:
                                        ; implicit-def: $sgpr20_sgpr21
	s_load_b32 s13, s[0:1], 0x3c
	s_branch .LBB6_8
	.section	.rodata,"a",@progbits
	.p2align	6, 0x0
	.amdhsa_kernel _ZN2at6native12_GLOBAL__N_130atomicadaptiveaveragegradinputIN3c104HalfEEEvPT_PKS5_iiiiiil
		.amdhsa_group_segment_fixed_size 0
		.amdhsa_private_segment_fixed_size 0
		.amdhsa_kernarg_size 304
		.amdhsa_user_sgpr_count 2
		.amdhsa_user_sgpr_dispatch_ptr 0
		.amdhsa_user_sgpr_queue_ptr 0
		.amdhsa_user_sgpr_kernarg_segment_ptr 1
		.amdhsa_user_sgpr_dispatch_id 0
		.amdhsa_user_sgpr_kernarg_preload_length 0
		.amdhsa_user_sgpr_kernarg_preload_offset 0
		.amdhsa_user_sgpr_private_segment_size 0
		.amdhsa_wavefront_size32 1
		.amdhsa_uses_dynamic_stack 0
		.amdhsa_enable_private_segment 0
		.amdhsa_system_sgpr_workgroup_id_x 1
		.amdhsa_system_sgpr_workgroup_id_y 1
		.amdhsa_system_sgpr_workgroup_id_z 0
		.amdhsa_system_sgpr_workgroup_info 0
		.amdhsa_system_vgpr_workitem_id 1
		.amdhsa_next_free_vgpr 30
		.amdhsa_next_free_sgpr 52
		.amdhsa_named_barrier_count 0
		.amdhsa_reserve_vcc 1
		.amdhsa_float_round_mode_32 0
		.amdhsa_float_round_mode_16_64 0
		.amdhsa_float_denorm_mode_32 3
		.amdhsa_float_denorm_mode_16_64 3
		.amdhsa_fp16_overflow 0
		.amdhsa_memory_ordered 1
		.amdhsa_forward_progress 1
		.amdhsa_inst_pref_size 54
		.amdhsa_round_robin_scheduling 0
		.amdhsa_exception_fp_ieee_invalid_op 0
		.amdhsa_exception_fp_denorm_src 0
		.amdhsa_exception_fp_ieee_div_zero 0
		.amdhsa_exception_fp_ieee_overflow 0
		.amdhsa_exception_fp_ieee_underflow 0
		.amdhsa_exception_fp_ieee_inexact 0
		.amdhsa_exception_int_div_zero 0
	.end_amdhsa_kernel
	.section	.text._ZN2at6native12_GLOBAL__N_130atomicadaptiveaveragegradinputIN3c104HalfEEEvPT_PKS5_iiiiiil,"axG",@progbits,_ZN2at6native12_GLOBAL__N_130atomicadaptiveaveragegradinputIN3c104HalfEEEvPT_PKS5_iiiiiil,comdat
.Lfunc_end6:
	.size	_ZN2at6native12_GLOBAL__N_130atomicadaptiveaveragegradinputIN3c104HalfEEEvPT_PKS5_iiiiiil, .Lfunc_end6-_ZN2at6native12_GLOBAL__N_130atomicadaptiveaveragegradinputIN3c104HalfEEEvPT_PKS5_iiiiiil
                                        ; -- End function
	.set _ZN2at6native12_GLOBAL__N_130atomicadaptiveaveragegradinputIN3c104HalfEEEvPT_PKS5_iiiiiil.num_vgpr, 30
	.set _ZN2at6native12_GLOBAL__N_130atomicadaptiveaveragegradinputIN3c104HalfEEEvPT_PKS5_iiiiiil.num_agpr, 0
	.set _ZN2at6native12_GLOBAL__N_130atomicadaptiveaveragegradinputIN3c104HalfEEEvPT_PKS5_iiiiiil.numbered_sgpr, 52
	.set _ZN2at6native12_GLOBAL__N_130atomicadaptiveaveragegradinputIN3c104HalfEEEvPT_PKS5_iiiiiil.num_named_barrier, 0
	.set _ZN2at6native12_GLOBAL__N_130atomicadaptiveaveragegradinputIN3c104HalfEEEvPT_PKS5_iiiiiil.private_seg_size, 0
	.set _ZN2at6native12_GLOBAL__N_130atomicadaptiveaveragegradinputIN3c104HalfEEEvPT_PKS5_iiiiiil.uses_vcc, 1
	.set _ZN2at6native12_GLOBAL__N_130atomicadaptiveaveragegradinputIN3c104HalfEEEvPT_PKS5_iiiiiil.uses_flat_scratch, 0
	.set _ZN2at6native12_GLOBAL__N_130atomicadaptiveaveragegradinputIN3c104HalfEEEvPT_PKS5_iiiiiil.has_dyn_sized_stack, 0
	.set _ZN2at6native12_GLOBAL__N_130atomicadaptiveaveragegradinputIN3c104HalfEEEvPT_PKS5_iiiiiil.has_recursion, 0
	.set _ZN2at6native12_GLOBAL__N_130atomicadaptiveaveragegradinputIN3c104HalfEEEvPT_PKS5_iiiiiil.has_indirect_call, 0
	.section	.AMDGPU.csdata,"",@progbits
; Kernel info:
; codeLenInByte = 6900
; TotalNumSgprs: 54
; NumVgprs: 30
; ScratchSize: 0
; MemoryBound: 0
; FloatMode: 240
; IeeeMode: 1
; LDSByteSize: 0 bytes/workgroup (compile time only)
; SGPRBlocks: 0
; VGPRBlocks: 1
; NumSGPRsForWavesPerEU: 54
; NumVGPRsForWavesPerEU: 30
; NamedBarCnt: 0
; Occupancy: 16
; WaveLimiterHint : 0
; COMPUTE_PGM_RSRC2:SCRATCH_EN: 0
; COMPUTE_PGM_RSRC2:USER_SGPR: 2
; COMPUTE_PGM_RSRC2:TRAP_HANDLER: 0
; COMPUTE_PGM_RSRC2:TGID_X_EN: 1
; COMPUTE_PGM_RSRC2:TGID_Y_EN: 1
; COMPUTE_PGM_RSRC2:TGID_Z_EN: 0
; COMPUTE_PGM_RSRC2:TIDIG_COMP_CNT: 1
	.section	.text._ZN2at6native12_GLOBAL__N_130atomicadaptiveaveragegradinputIN3c108BFloat16EEEvPT_PKS5_iiiiiil,"axG",@progbits,_ZN2at6native12_GLOBAL__N_130atomicadaptiveaveragegradinputIN3c108BFloat16EEEvPT_PKS5_iiiiiil,comdat
	.globl	_ZN2at6native12_GLOBAL__N_130atomicadaptiveaveragegradinputIN3c108BFloat16EEEvPT_PKS5_iiiiiil ; -- Begin function _ZN2at6native12_GLOBAL__N_130atomicadaptiveaveragegradinputIN3c108BFloat16EEEvPT_PKS5_iiiiiil
	.p2align	8
	.type	_ZN2at6native12_GLOBAL__N_130atomicadaptiveaveragegradinputIN3c108BFloat16EEEvPT_PKS5_iiiiiil,@function
_ZN2at6native12_GLOBAL__N_130atomicadaptiveaveragegradinputIN3c108BFloat16EEEvPT_PKS5_iiiiiil: ; @_ZN2at6native12_GLOBAL__N_130atomicadaptiveaveragegradinputIN3c108BFloat16EEEvPT_PKS5_iiiiiil
; %bb.0:
	s_load_b256 s[4:11], s[0:1], 0x10
	s_bfe_u32 s2, ttmp6, 0x4000c
	s_and_b32 s3, ttmp6, 15
	s_add_co_i32 s2, s2, 1
	s_getreg_b32 s26, hwreg(HW_REG_IB_STS2, 6, 4)
	s_mul_i32 s2, ttmp9, s2
	s_mov_b32 s15, 0
	s_add_co_i32 s3, s3, s2
	s_cmp_eq_u32 s26, 0
	s_cselect_b32 s14, ttmp9, s3
	s_wait_kmcnt 0x0
	s_add_nc_u64 s[2:3], s[10:11], s[14:15]
	s_ashr_i32 s11, s7, 31
	s_mov_b32 s10, s7
	s_delay_alu instid0(SALU_CYCLE_1) | instskip(NEXT) | instid1(SALU_CYCLE_1)
	s_or_b64 s[12:13], s[2:3], s[10:11]
	s_and_b64 s[12:13], s[12:13], 0xffffffff00000000
	s_delay_alu instid0(SALU_CYCLE_1)
	s_cmp_lg_u64 s[12:13], 0
	s_cbranch_scc0 .LBB7_51
; %bb.1:
	s_ashr_i32 s12, s11, 31
	s_delay_alu instid0(SALU_CYCLE_1) | instskip(NEXT) | instid1(SALU_CYCLE_1)
	s_mov_b32 s13, s12
	s_add_nc_u64 s[16:17], s[10:11], s[12:13]
	s_delay_alu instid0(SALU_CYCLE_1) | instskip(NEXT) | instid1(SALU_CYCLE_1)
	s_xor_b64 s[16:17], s[16:17], s[12:13]
	s_cvt_f32_u32 s7, s16
	s_cvt_f32_u32 s14, s17
	s_sub_nc_u64 s[20:21], 0, s[16:17]
	s_delay_alu instid0(SALU_CYCLE_2) | instskip(NEXT) | instid1(SALU_CYCLE_3)
	s_fmamk_f32 s7, s14, 0x4f800000, s7
	v_s_rcp_f32 s7, s7
	s_delay_alu instid0(TRANS32_DEP_1) | instskip(NEXT) | instid1(SALU_CYCLE_3)
	s_mul_f32 s7, s7, 0x5f7ffffc
	s_mul_f32 s14, s7, 0x2f800000
	s_delay_alu instid0(SALU_CYCLE_3) | instskip(NEXT) | instid1(SALU_CYCLE_3)
	s_trunc_f32 s14, s14
	s_fmamk_f32 s7, s14, 0xcf800000, s7
	s_cvt_u32_f32 s19, s14
	s_delay_alu instid0(SALU_CYCLE_2) | instskip(NEXT) | instid1(SALU_CYCLE_3)
	s_cvt_u32_f32 s18, s7
	s_mul_u64 s[22:23], s[20:21], s[18:19]
	s_delay_alu instid0(SALU_CYCLE_1)
	s_mul_hi_u32 s25, s18, s23
	s_mul_i32 s24, s18, s23
	s_mul_hi_u32 s14, s18, s22
	s_mul_i32 s27, s19, s22
	s_add_nc_u64 s[24:25], s[14:15], s[24:25]
	s_mul_hi_u32 s7, s19, s22
	s_mul_hi_u32 s28, s19, s23
	s_add_co_u32 s14, s24, s27
	s_add_co_ci_u32 s14, s25, s7
	s_mul_i32 s22, s19, s23
	s_add_co_ci_u32 s23, s28, 0
	s_delay_alu instid0(SALU_CYCLE_1) | instskip(NEXT) | instid1(SALU_CYCLE_1)
	s_add_nc_u64 s[22:23], s[14:15], s[22:23]
	s_add_co_u32 s18, s18, s22
	s_cselect_b32 s7, -1, 0
	s_delay_alu instid0(SALU_CYCLE_1) | instskip(SKIP_1) | instid1(SALU_CYCLE_1)
	s_cmp_lg_u32 s7, 0
	s_add_co_ci_u32 s19, s19, s23
	s_mul_u64 s[20:21], s[20:21], s[18:19]
	s_delay_alu instid0(SALU_CYCLE_1)
	s_mul_hi_u32 s23, s18, s21
	s_mul_i32 s22, s18, s21
	s_mul_hi_u32 s14, s18, s20
	s_mul_i32 s24, s19, s20
	s_add_nc_u64 s[22:23], s[14:15], s[22:23]
	s_mul_hi_u32 s7, s19, s20
	s_mul_hi_u32 s25, s19, s21
	s_add_co_u32 s14, s22, s24
	s_add_co_ci_u32 s14, s23, s7
	s_mul_i32 s20, s19, s21
	s_add_co_ci_u32 s21, s25, 0
	s_delay_alu instid0(SALU_CYCLE_1) | instskip(NEXT) | instid1(SALU_CYCLE_1)
	s_add_nc_u64 s[20:21], s[14:15], s[20:21]
	s_add_co_u32 s7, s18, s20
	s_cselect_b32 s14, -1, 0
	s_delay_alu instid0(SALU_CYCLE_1) | instskip(SKIP_2) | instid1(SALU_CYCLE_1)
	s_cmp_lg_u32 s14, 0
	s_add_co_ci_u32 s24, s19, s21
	s_ashr_i32 s18, s3, 31
	s_mov_b32 s19, s18
	s_delay_alu instid0(SALU_CYCLE_1) | instskip(NEXT) | instid1(SALU_CYCLE_1)
	s_add_nc_u64 s[20:21], s[2:3], s[18:19]
	s_xor_b64 s[20:21], s[20:21], s[18:19]
	s_delay_alu instid0(SALU_CYCLE_1)
	s_mul_hi_u32 s23, s20, s24
	s_mul_i32 s22, s20, s24
	s_mul_hi_u32 s14, s20, s7
	s_mul_hi_u32 s27, s21, s7
	s_mul_i32 s7, s21, s7
	s_add_nc_u64 s[22:23], s[14:15], s[22:23]
	s_mul_hi_u32 s25, s21, s24
	s_add_co_u32 s7, s22, s7
	s_add_co_ci_u32 s14, s23, s27
	s_mul_i32 s24, s21, s24
	s_add_co_ci_u32 s25, s25, 0
	s_delay_alu instid0(SALU_CYCLE_1) | instskip(NEXT) | instid1(SALU_CYCLE_1)
	s_add_nc_u64 s[22:23], s[14:15], s[24:25]
	s_and_b64 s[24:25], s[22:23], 0xffffffff00000000
	s_delay_alu instid0(SALU_CYCLE_1) | instskip(NEXT) | instid1(SALU_CYCLE_1)
	s_or_b32 s24, s24, s22
	s_mul_u64 s[22:23], s[16:17], s[24:25]
	s_add_nc_u64 s[28:29], s[24:25], 1
	s_sub_co_u32 s7, s20, s22
	s_cselect_b32 s14, -1, 0
	s_sub_co_i32 s20, s21, s23
	s_cmp_lg_u32 s14, 0
	s_add_nc_u64 s[30:31], s[24:25], 2
	s_sub_co_ci_u32 s20, s20, s17
	s_sub_co_u32 s22, s7, s16
	s_cselect_b32 s27, -1, 0
	s_delay_alu instid0(SALU_CYCLE_1) | instskip(SKIP_1) | instid1(SALU_CYCLE_1)
	s_cmp_lg_u32 s27, 0
	s_sub_co_ci_u32 s20, s20, 0
	s_cmp_ge_u32 s20, s17
	s_cselect_b32 s27, -1, 0
	s_cmp_ge_u32 s22, s16
	s_cselect_b32 s22, -1, 0
	s_cmp_eq_u32 s20, s17
	s_cselect_b32 s20, s22, s27
	s_delay_alu instid0(SALU_CYCLE_1) | instskip(SKIP_4) | instid1(SALU_CYCLE_1)
	s_cmp_lg_u32 s20, 0
	s_cselect_b32 s20, s30, s28
	s_cselect_b32 s22, s31, s29
	s_cmp_lg_u32 s14, 0
	s_sub_co_ci_u32 s14, s21, s23
	s_cmp_ge_u32 s14, s17
	s_cselect_b32 s21, -1, 0
	s_cmp_ge_u32 s7, s16
	s_cselect_b32 s7, -1, 0
	s_cmp_eq_u32 s14, s17
	s_cselect_b32 s7, s7, s21
	s_delay_alu instid0(SALU_CYCLE_1) | instskip(SKIP_3) | instid1(SALU_CYCLE_1)
	s_cmp_lg_u32 s7, 0
	s_cselect_b32 s17, s22, s25
	s_cselect_b32 s16, s20, s24
	s_xor_b64 s[12:13], s[18:19], s[12:13]
	s_xor_b64 s[16:17], s[16:17], s[12:13]
	s_delay_alu instid0(SALU_CYCLE_1)
	s_sub_nc_u64 s[12:13], s[16:17], s[12:13]
	s_and_not1_b32 vcc_lo, exec_lo, s15
	s_cbranch_vccnz .LBB7_3
.LBB7_2:
	v_cvt_f32_u32_e32 v1, s10
	s_sub_co_i32 s12, 0, s10
	s_delay_alu instid0(VALU_DEP_1) | instskip(SKIP_1) | instid1(TRANS32_DEP_1)
	v_rcp_iflag_f32_e32 v1, v1
	v_nop
	v_mul_f32_e32 v1, 0x4f7ffffe, v1
	s_delay_alu instid0(VALU_DEP_1) | instskip(NEXT) | instid1(VALU_DEP_1)
	v_cvt_u32_f32_e32 v1, v1
	v_readfirstlane_b32 s7, v1
	s_mul_i32 s12, s12, s7
	s_delay_alu instid0(SALU_CYCLE_1) | instskip(NEXT) | instid1(SALU_CYCLE_1)
	s_mul_hi_u32 s12, s7, s12
	s_add_co_i32 s7, s7, s12
	s_delay_alu instid0(SALU_CYCLE_1) | instskip(NEXT) | instid1(SALU_CYCLE_1)
	s_mul_hi_u32 s7, s2, s7
	s_mul_i32 s12, s7, s10
	s_add_co_i32 s13, s7, 1
	s_sub_co_i32 s12, s2, s12
	s_delay_alu instid0(SALU_CYCLE_1)
	s_sub_co_i32 s14, s12, s10
	s_cmp_ge_u32 s12, s10
	s_cselect_b32 s7, s13, s7
	s_cselect_b32 s12, s14, s12
	s_add_co_i32 s14, s7, 1
	s_cmp_ge_u32 s12, s10
	s_mov_b32 s13, 0
	s_cselect_b32 s12, s14, s7
.LBB7_3:
	s_abs_i32 s7, s10
	s_mov_b32 s23, 0
	s_cvt_f32_u32 s14, s7
	s_sub_co_i32 s17, 0, s7
	s_delay_alu instid0(SALU_CYCLE_2) | instskip(SKIP_1) | instid1(TRANS32_DEP_1)
	v_rcp_iflag_f32_e32 v1, s14
	v_nop
	v_readfirstlane_b32 s14, v1
	s_mul_f32 s14, s14, 0x4f7ffffe
	s_delay_alu instid0(SALU_CYCLE_3) | instskip(SKIP_1) | instid1(SALU_CYCLE_1)
	s_cvt_u32_f32 s16, s14
	s_mul_u64 s[14:15], s[12:13], s[10:11]
	s_sub_nc_u64 s[18:19], s[2:3], s[14:15]
	s_delay_alu instid0(SALU_CYCLE_1) | instskip(SKIP_4) | instid1(SALU_CYCLE_1)
	s_mul_i32 s17, s17, s16
	s_abs_i32 s14, s18
	s_mul_hi_u32 s13, s16, s17
	s_ashr_i32 s15, s4, 31
	s_add_co_i32 s16, s16, s13
	s_mul_hi_u32 s13, s14, s16
	s_xor_b32 s16, s18, s10
	s_mul_i32 s17, s13, s7
	s_ashr_i32 s16, s16, 31
	s_sub_co_i32 s14, s14, s17
	s_add_co_i32 s17, s13, 1
	s_sub_co_i32 s20, s14, s7
	s_cmp_ge_u32 s14, s7
	s_cselect_b32 s13, s17, s13
	s_cselect_b32 s14, s20, s14
	s_add_co_i32 s17, s13, 1
	s_cmp_ge_u32 s14, s7
	s_mov_b32 s14, s4
	s_cselect_b32 s7, s17, s13
	s_delay_alu instid0(SALU_CYCLE_1) | instskip(NEXT) | instid1(SALU_CYCLE_1)
	s_xor_b32 s7, s7, s16
	s_sub_co_i32 s7, s7, s16
	s_delay_alu instid0(SALU_CYCLE_1) | instskip(NEXT) | instid1(SALU_CYCLE_1)
	s_mul_i32 s13, s7, s10
	s_sub_co_i32 s16, s18, s13
	s_delay_alu instid0(SALU_CYCLE_1) | instskip(NEXT) | instid1(SALU_CYCLE_1)
	s_ashr_i32 s17, s16, 31
	s_mul_u64 s[20:21], s[16:17], s[14:15]
	s_delay_alu instid0(SALU_CYCLE_1) | instskip(NEXT) | instid1(SALU_CYCLE_1)
	s_or_b64 s[16:17], s[20:21], s[10:11]
	s_and_b64 s[16:17], s[16:17], 0xffffffff00000000
	s_delay_alu instid0(SALU_CYCLE_1)
	s_cmp_lg_u64 s[16:17], 0
	s_cbranch_scc0 .LBB7_52
; %bb.4:
	s_ashr_i32 s16, s11, 31
	s_delay_alu instid0(SALU_CYCLE_1) | instskip(NEXT) | instid1(SALU_CYCLE_1)
	s_mov_b32 s17, s16
	s_add_nc_u64 s[24:25], s[10:11], s[16:17]
	s_delay_alu instid0(SALU_CYCLE_1) | instskip(NEXT) | instid1(SALU_CYCLE_1)
	s_xor_b64 s[24:25], s[24:25], s[16:17]
	s_cvt_f32_u32 s13, s24
	s_cvt_f32_u32 s22, s25
	s_sub_nc_u64 s[30:31], 0, s[24:25]
	s_delay_alu instid0(SALU_CYCLE_2) | instskip(NEXT) | instid1(SALU_CYCLE_3)
	s_fmamk_f32 s13, s22, 0x4f800000, s13
	v_s_rcp_f32 s13, s13
	s_delay_alu instid0(TRANS32_DEP_1) | instskip(NEXT) | instid1(SALU_CYCLE_3)
	s_mul_f32 s13, s13, 0x5f7ffffc
	s_mul_f32 s22, s13, 0x2f800000
	s_delay_alu instid0(SALU_CYCLE_3) | instskip(NEXT) | instid1(SALU_CYCLE_3)
	s_trunc_f32 s22, s22
	s_fmamk_f32 s13, s22, 0xcf800000, s13
	s_cvt_u32_f32 s29, s22
	s_delay_alu instid0(SALU_CYCLE_2) | instskip(NEXT) | instid1(SALU_CYCLE_3)
	s_cvt_u32_f32 s28, s13
	s_mul_u64 s[34:35], s[30:31], s[28:29]
	s_delay_alu instid0(SALU_CYCLE_1)
	s_mul_hi_u32 s37, s28, s35
	s_mul_i32 s36, s28, s35
	s_mul_hi_u32 s22, s28, s34
	s_mul_i32 s27, s29, s34
	s_add_nc_u64 s[36:37], s[22:23], s[36:37]
	s_mul_hi_u32 s13, s29, s34
	s_mul_hi_u32 s33, s29, s35
	s_add_co_u32 s22, s36, s27
	s_add_co_ci_u32 s22, s37, s13
	s_mul_i32 s34, s29, s35
	s_add_co_ci_u32 s35, s33, 0
	s_delay_alu instid0(SALU_CYCLE_1) | instskip(NEXT) | instid1(SALU_CYCLE_1)
	s_add_nc_u64 s[34:35], s[22:23], s[34:35]
	s_add_co_u32 s28, s28, s34
	s_cselect_b32 s13, -1, 0
	s_delay_alu instid0(SALU_CYCLE_1) | instskip(SKIP_1) | instid1(SALU_CYCLE_1)
	s_cmp_lg_u32 s13, 0
	s_add_co_ci_u32 s29, s29, s35
	s_mul_u64 s[30:31], s[30:31], s[28:29]
	s_delay_alu instid0(SALU_CYCLE_1)
	s_mul_hi_u32 s35, s28, s31
	s_mul_i32 s34, s28, s31
	s_mul_hi_u32 s22, s28, s30
	s_mul_i32 s27, s29, s30
	s_add_nc_u64 s[34:35], s[22:23], s[34:35]
	s_mul_hi_u32 s13, s29, s30
	s_mul_hi_u32 s33, s29, s31
	s_add_co_u32 s22, s34, s27
	s_add_co_ci_u32 s22, s35, s13
	s_mul_i32 s30, s29, s31
	s_add_co_ci_u32 s31, s33, 0
	s_delay_alu instid0(SALU_CYCLE_1) | instskip(NEXT) | instid1(SALU_CYCLE_1)
	s_add_nc_u64 s[30:31], s[22:23], s[30:31]
	s_add_co_u32 s13, s28, s30
	s_cselect_b32 s22, -1, 0
	s_delay_alu instid0(SALU_CYCLE_1) | instskip(SKIP_2) | instid1(SALU_CYCLE_1)
	s_cmp_lg_u32 s22, 0
	s_add_co_ci_u32 s27, s29, s31
	s_ashr_i32 s28, s21, 31
	s_mov_b32 s29, s28
	s_delay_alu instid0(SALU_CYCLE_1) | instskip(NEXT) | instid1(SALU_CYCLE_1)
	s_add_nc_u64 s[30:31], s[20:21], s[28:29]
	s_xor_b64 s[30:31], s[30:31], s[28:29]
	s_delay_alu instid0(SALU_CYCLE_1)
	s_mul_hi_u32 s35, s30, s27
	s_mul_i32 s34, s30, s27
	s_mul_hi_u32 s22, s30, s13
	s_mul_hi_u32 s33, s31, s13
	s_mul_i32 s13, s31, s13
	s_add_nc_u64 s[34:35], s[22:23], s[34:35]
	s_mul_hi_u32 s21, s31, s27
	s_add_co_u32 s13, s34, s13
	s_add_co_ci_u32 s22, s35, s33
	s_mul_i32 s36, s31, s27
	s_add_co_ci_u32 s37, s21, 0
	s_delay_alu instid0(SALU_CYCLE_1) | instskip(NEXT) | instid1(SALU_CYCLE_1)
	s_add_nc_u64 s[34:35], s[22:23], s[36:37]
	s_and_b64 s[36:37], s[34:35], 0xffffffff00000000
	s_delay_alu instid0(SALU_CYCLE_1) | instskip(NEXT) | instid1(SALU_CYCLE_1)
	s_or_b32 s36, s36, s34
	s_mul_u64 s[34:35], s[24:25], s[36:37]
	s_add_nc_u64 s[38:39], s[36:37], 1
	s_sub_co_u32 s13, s30, s34
	s_cselect_b32 s21, -1, 0
	s_sub_co_i32 s22, s31, s35
	s_cmp_lg_u32 s21, 0
	s_add_nc_u64 s[40:41], s[36:37], 2
	s_sub_co_ci_u32 s22, s22, s25
	s_sub_co_u32 s27, s13, s24
	s_cselect_b32 s30, -1, 0
	s_delay_alu instid0(SALU_CYCLE_1) | instskip(SKIP_1) | instid1(SALU_CYCLE_1)
	s_cmp_lg_u32 s30, 0
	s_sub_co_ci_u32 s22, s22, 0
	s_cmp_ge_u32 s22, s25
	s_cselect_b32 s30, -1, 0
	s_cmp_ge_u32 s27, s24
	s_cselect_b32 s27, -1, 0
	s_cmp_eq_u32 s22, s25
	s_cselect_b32 s22, s27, s30
	s_delay_alu instid0(SALU_CYCLE_1) | instskip(SKIP_4) | instid1(SALU_CYCLE_1)
	s_cmp_lg_u32 s22, 0
	s_cselect_b32 s22, s40, s38
	s_cselect_b32 s27, s41, s39
	s_cmp_lg_u32 s21, 0
	s_sub_co_ci_u32 s21, s31, s35
	s_cmp_ge_u32 s21, s25
	s_cselect_b32 s30, -1, 0
	s_cmp_ge_u32 s13, s24
	s_cselect_b32 s13, -1, 0
	s_cmp_eq_u32 s21, s25
	s_cselect_b32 s13, s13, s30
	s_delay_alu instid0(SALU_CYCLE_1) | instskip(SKIP_3) | instid1(SALU_CYCLE_1)
	s_cmp_lg_u32 s13, 0
	s_cselect_b32 s25, s27, s37
	s_cselect_b32 s24, s22, s36
	s_xor_b64 s[16:17], s[28:29], s[16:17]
	s_xor_b64 s[24:25], s[24:25], s[16:17]
	s_delay_alu instid0(SALU_CYCLE_1)
	s_sub_nc_u64 s[16:17], s[24:25], s[16:17]
	s_and_not1_b32 vcc_lo, exec_lo, s23
	s_cbranch_vccnz .LBB7_6
.LBB7_5:
	v_cvt_f32_u32_e32 v1, s10
	s_sub_co_i32 s16, 0, s10
	s_delay_alu instid0(VALU_DEP_1) | instskip(SKIP_1) | instid1(TRANS32_DEP_1)
	v_rcp_iflag_f32_e32 v1, v1
	v_nop
	v_mul_f32_e32 v1, 0x4f7ffffe, v1
	s_delay_alu instid0(VALU_DEP_1) | instskip(NEXT) | instid1(VALU_DEP_1)
	v_cvt_u32_f32_e32 v1, v1
	v_readfirstlane_b32 s13, v1
	s_mul_i32 s16, s16, s13
	s_delay_alu instid0(SALU_CYCLE_1) | instskip(NEXT) | instid1(SALU_CYCLE_1)
	s_mul_hi_u32 s16, s13, s16
	s_add_co_i32 s13, s13, s16
	s_delay_alu instid0(SALU_CYCLE_1) | instskip(NEXT) | instid1(SALU_CYCLE_1)
	s_mul_hi_u32 s13, s20, s13
	s_mul_i32 s16, s13, s10
	s_add_co_i32 s17, s13, 1
	s_sub_co_i32 s16, s20, s16
	s_delay_alu instid0(SALU_CYCLE_1)
	s_sub_co_i32 s20, s16, s10
	s_cmp_ge_u32 s16, s10
	s_cselect_b32 s13, s17, s13
	s_cselect_b32 s16, s20, s16
	s_add_co_i32 s17, s13, 1
	s_cmp_ge_u32 s16, s10
	s_cselect_b32 s16, s17, s13
.LBB7_6:
	s_add_nc_u64 s[18:19], s[18:19], 1
	s_delay_alu instid0(SALU_CYCLE_1) | instskip(NEXT) | instid1(SALU_CYCLE_1)
	s_mul_u64 s[18:19], s[18:19], s[14:15]
	s_add_nc_u64 s[18:19], s[18:19], -1
	s_delay_alu instid0(SALU_CYCLE_1) | instskip(NEXT) | instid1(SALU_CYCLE_1)
	s_or_b64 s[20:21], s[18:19], s[10:11]
	s_and_b64 s[20:21], s[20:21], 0xffffffff00000000
	s_delay_alu instid0(SALU_CYCLE_1)
	s_cmp_lg_u64 s[20:21], 0
	s_cbranch_scc0 .LBB7_53
; %bb.7:
	s_ashr_i32 s20, s11, 31
	s_delay_alu instid0(SALU_CYCLE_1) | instskip(NEXT) | instid1(SALU_CYCLE_1)
	s_mov_b32 s21, s20
	s_add_nc_u64 s[22:23], s[10:11], s[20:21]
	s_delay_alu instid0(SALU_CYCLE_1) | instskip(SKIP_4) | instid1(SALU_CYCLE_2)
	s_xor_b64 s[24:25], s[22:23], s[20:21]
	s_mov_b32 s23, 0
	s_cvt_f32_u32 s11, s24
	s_cvt_f32_u32 s13, s25
	s_sub_nc_u64 s[30:31], 0, s[24:25]
	s_fmamk_f32 s11, s13, 0x4f800000, s11
	s_delay_alu instid0(SALU_CYCLE_3) | instskip(NEXT) | instid1(TRANS32_DEP_1)
	v_s_rcp_f32 s11, s11
	s_mul_f32 s11, s11, 0x5f7ffffc
	s_delay_alu instid0(SALU_CYCLE_3) | instskip(NEXT) | instid1(SALU_CYCLE_3)
	s_mul_f32 s13, s11, 0x2f800000
	s_trunc_f32 s13, s13
	s_delay_alu instid0(SALU_CYCLE_3) | instskip(SKIP_1) | instid1(SALU_CYCLE_2)
	s_fmamk_f32 s11, s13, 0xcf800000, s11
	s_cvt_u32_f32 s29, s13
	s_cvt_u32_f32 s28, s11
	s_delay_alu instid0(SALU_CYCLE_3) | instskip(NEXT) | instid1(SALU_CYCLE_1)
	s_mul_u64 s[34:35], s[30:31], s[28:29]
	s_mul_hi_u32 s37, s28, s35
	s_mul_i32 s36, s28, s35
	s_mul_hi_u32 s22, s28, s34
	s_mul_i32 s13, s29, s34
	s_add_nc_u64 s[36:37], s[22:23], s[36:37]
	s_mul_hi_u32 s11, s29, s34
	s_mul_hi_u32 s15, s29, s35
	s_add_co_u32 s13, s36, s13
	s_add_co_ci_u32 s22, s37, s11
	s_mul_i32 s34, s29, s35
	s_add_co_ci_u32 s35, s15, 0
	s_delay_alu instid0(SALU_CYCLE_1) | instskip(NEXT) | instid1(SALU_CYCLE_1)
	s_add_nc_u64 s[34:35], s[22:23], s[34:35]
	s_add_co_u32 s28, s28, s34
	s_cselect_b32 s11, -1, 0
	s_delay_alu instid0(SALU_CYCLE_1) | instskip(SKIP_1) | instid1(SALU_CYCLE_1)
	s_cmp_lg_u32 s11, 0
	s_add_co_ci_u32 s29, s29, s35
	s_mul_u64 s[30:31], s[30:31], s[28:29]
	s_delay_alu instid0(SALU_CYCLE_1)
	s_mul_hi_u32 s35, s28, s31
	s_mul_i32 s34, s28, s31
	s_mul_hi_u32 s22, s28, s30
	s_mul_i32 s13, s29, s30
	s_add_nc_u64 s[34:35], s[22:23], s[34:35]
	s_mul_hi_u32 s11, s29, s30
	s_mul_hi_u32 s15, s29, s31
	s_add_co_u32 s13, s34, s13
	s_add_co_ci_u32 s22, s35, s11
	s_mul_i32 s30, s29, s31
	s_add_co_ci_u32 s31, s15, 0
	s_delay_alu instid0(SALU_CYCLE_1) | instskip(NEXT) | instid1(SALU_CYCLE_1)
	s_add_nc_u64 s[30:31], s[22:23], s[30:31]
	s_add_co_u32 s11, s28, s30
	s_cselect_b32 s13, -1, 0
	s_delay_alu instid0(SALU_CYCLE_1) | instskip(SKIP_2) | instid1(SALU_CYCLE_1)
	s_cmp_lg_u32 s13, 0
	s_add_co_ci_u32 s13, s29, s31
	s_ashr_i32 s28, s19, 31
	s_mov_b32 s29, s28
	s_delay_alu instid0(SALU_CYCLE_1) | instskip(NEXT) | instid1(SALU_CYCLE_1)
	s_add_nc_u64 s[30:31], s[18:19], s[28:29]
	s_xor_b64 s[30:31], s[30:31], s[28:29]
	s_delay_alu instid0(SALU_CYCLE_1)
	s_mul_hi_u32 s35, s30, s13
	s_mul_i32 s34, s30, s13
	s_mul_hi_u32 s22, s30, s11
	s_mul_hi_u32 s17, s31, s11
	s_mul_i32 s11, s31, s11
	s_add_nc_u64 s[34:35], s[22:23], s[34:35]
	s_mul_hi_u32 s15, s31, s13
	s_add_co_u32 s11, s34, s11
	s_add_co_ci_u32 s22, s35, s17
	s_mul_i32 s36, s31, s13
	s_add_co_ci_u32 s37, s15, 0
	s_delay_alu instid0(SALU_CYCLE_1) | instskip(NEXT) | instid1(SALU_CYCLE_1)
	s_add_nc_u64 s[34:35], s[22:23], s[36:37]
	s_and_b64 s[36:37], s[34:35], 0xffffffff00000000
	s_delay_alu instid0(SALU_CYCLE_1) | instskip(NEXT) | instid1(SALU_CYCLE_1)
	s_or_b32 s36, s36, s34
	s_mul_u64 s[34:35], s[24:25], s[36:37]
	s_add_nc_u64 s[38:39], s[36:37], 1
	s_sub_co_u32 s11, s30, s34
	s_cselect_b32 s13, -1, 0
	s_sub_co_i32 s15, s31, s35
	s_cmp_lg_u32 s13, 0
	s_add_nc_u64 s[40:41], s[36:37], 2
	s_sub_co_ci_u32 s15, s15, s25
	s_sub_co_u32 s17, s11, s24
	s_cselect_b32 s19, -1, 0
	s_delay_alu instid0(SALU_CYCLE_1) | instskip(SKIP_1) | instid1(SALU_CYCLE_1)
	s_cmp_lg_u32 s19, 0
	s_sub_co_ci_u32 s15, s15, 0
	s_cmp_ge_u32 s15, s25
	s_cselect_b32 s19, -1, 0
	s_cmp_ge_u32 s17, s24
	s_cselect_b32 s17, -1, 0
	s_cmp_eq_u32 s15, s25
	s_cselect_b32 s15, s17, s19
	s_delay_alu instid0(SALU_CYCLE_1) | instskip(SKIP_4) | instid1(SALU_CYCLE_1)
	s_cmp_lg_u32 s15, 0
	s_cselect_b32 s15, s40, s38
	s_cselect_b32 s17, s41, s39
	s_cmp_lg_u32 s13, 0
	s_sub_co_ci_u32 s13, s31, s35
	s_cmp_ge_u32 s13, s25
	s_cselect_b32 s19, -1, 0
	s_cmp_ge_u32 s11, s24
	s_cselect_b32 s11, -1, 0
	s_cmp_eq_u32 s13, s25
	s_cselect_b32 s11, s11, s19
	s_delay_alu instid0(SALU_CYCLE_1) | instskip(SKIP_3) | instid1(SALU_CYCLE_1)
	s_cmp_lg_u32 s11, 0
	s_cselect_b32 s25, s17, s37
	s_cselect_b32 s24, s15, s36
	s_xor_b64 s[20:21], s[28:29], s[20:21]
	s_xor_b64 s[24:25], s[24:25], s[20:21]
	s_delay_alu instid0(SALU_CYCLE_1)
	s_sub_nc_u64 s[20:21], s[24:25], s[20:21]
	s_load_b32 s17, s[0:1], 0x3c
	s_cbranch_execnz .LBB7_9
.LBB7_8:
	v_cvt_f32_u32_e32 v1, s10
	s_sub_co_i32 s13, 0, s10
	s_delay_alu instid0(VALU_DEP_1) | instskip(SKIP_1) | instid1(TRANS32_DEP_1)
	v_rcp_iflag_f32_e32 v1, v1
	v_nop
	v_mul_f32_e32 v1, 0x4f7ffffe, v1
	s_delay_alu instid0(VALU_DEP_1) | instskip(NEXT) | instid1(VALU_DEP_1)
	v_cvt_u32_f32_e32 v1, v1
	v_readfirstlane_b32 s11, v1
	s_mul_i32 s13, s13, s11
	s_delay_alu instid0(SALU_CYCLE_1) | instskip(NEXT) | instid1(SALU_CYCLE_1)
	s_mul_hi_u32 s13, s11, s13
	s_add_co_i32 s11, s11, s13
	s_delay_alu instid0(SALU_CYCLE_1) | instskip(NEXT) | instid1(SALU_CYCLE_1)
	s_mul_hi_u32 s11, s18, s11
	s_mul_i32 s13, s11, s10
	s_add_co_i32 s15, s11, 1
	s_sub_co_i32 s13, s18, s13
	s_delay_alu instid0(SALU_CYCLE_1)
	s_sub_co_i32 s18, s13, s10
	s_cmp_ge_u32 s13, s10
	s_cselect_b32 s11, s15, s11
	s_cselect_b32 s13, s18, s13
	s_add_co_i32 s15, s11, 1
	s_cmp_ge_u32 s13, s10
	s_cselect_b32 s20, s15, s11
.LBB7_9:
	s_bfe_u32 s10, ttmp6, 0x40010
	s_bfe_u32 s13, ttmp6, 0x40004
	s_add_co_i32 s10, s10, 1
	s_wait_kmcnt 0x0
	s_lshr_b32 s11, s17, 16
	s_mul_i32 s10, ttmp7, s10
	v_bfe_u32 v1, v0, 10, 10
	s_add_co_i32 s13, s13, s10
	s_cmp_eq_u32 s26, 0
	s_cselect_b32 s10, ttmp7, s13
	s_mov_b32 s13, exec_lo
	v_mad_u32 v2, s10, s11, v1
	s_mov_b32 s10, 0
	s_delay_alu instid0(VALU_DEP_1)
	v_cmpx_gt_i32_e64 s8, v2
	s_cbranch_execz .LBB7_50
; %bb.10:
	s_mul_i32 s7, s7, s14
	s_mul_i32 s12, s4, s12
	s_add_co_i32 s7, s16, s7
	s_mul_i32 s4, s6, s5
	s_add_co_i32 s12, s12, s7
	s_sub_co_i32 s30, s20, s7
	s_mul_i32 s18, s4, s12
	s_mov_b32 s12, s8
	s_add_co_i32 s30, s30, 1
	v_cvt_f32_u32_e32 v1, s12
	s_cvt_f32_i32 s7, s30
	s_ashr_i32 s13, s8, 31
	s_ashr_i32 s15, s9, 31
	s_mov_b32 s14, s9
	v_rcp_iflag_f32_e32 v1, v1
	s_bfe_u32 s16, s7, 0x10010
	s_mul_u64 s[20:21], s[14:15], s[12:13]
	s_add_co_i32 s7, s7, s16
	s_ashr_i32 s19, s18, 31
	s_mul_u64 s[2:3], s[20:21], s[2:3]
	s_add_co_i32 s16, s7, 0x7fff
	v_nop
	v_mul_f32_e32 v1, 0x4f7ffffe, v1
	s_lshl_b64 s[24:25], s[18:19], 1
	s_lshl_b64 s[2:3], s[2:3], 1
	s_and_b32 s31, s17, 0xffff
	s_ashr_i32 s17, s5, 31
	s_ashr_i32 s7, s6, 31
	s_and_b32 s33, s16, 0xffff0000
	v_cvt_u32_f32_e32 v4, v1
	s_cmp_gt_i32 s30, 0
	s_clause 0x1
	s_load_b32 s37, s[0:1], 0x34
	s_load_b128 s[20:23], s[0:1], 0x0
	s_cselect_b32 s34, -1, 0
	s_wait_xcnt 0x0
	s_sub_co_i32 s1, 0, s8
	s_ashr_i32 s35, s8, 31
	v_mul_lo_u32 v5, s1, v4
	s_add_co_i32 s16, s8, s35
	v_and_b32_e32 v18, 0x3ff, v0
	s_xor_b32 s36, s16, s35
	s_mov_b32 s16, s5
	v_cvt_f32_u32_e32 v3, s36
	s_sub_co_i32 s0, 0, s36
	s_mov_b64 s[18:19], 0xffffffff
	s_ashr_i32 s5, s4, 31
	s_mov_b32 s38, 0
	v_rcp_iflag_f32_e32 v3, v3
	v_mul_hi_u32 v5, v4, v5
	s_wait_kmcnt 0x0
	s_mul_i32 s37, s37, s11
	s_add_nc_u64 s[20:21], s[20:21], s[24:25]
	s_delay_alu instid0(TRANS32_DEP_1) | instskip(SKIP_2) | instid1(VALU_DEP_2)
	v_mul_f32_e32 v3, 0x4f7ffffe, v3
	s_add_nc_u64 s[22:23], s[22:23], s[2:3]
	s_ashr_i32 s24, s13, 31
	v_add_nc_u32_e32 v20, v4, v5
	s_delay_alu instid0(VALU_DEP_2) | instskip(NEXT) | instid1(VALU_DEP_1)
	v_cvt_u32_f32_e32 v3, v3
	v_mul_lo_u32 v1, s0, v3
	v_cmp_gt_i32_e64 s0, s9, v18
	s_delay_alu instid0(VALU_DEP_2) | instskip(NEXT) | instid1(VALU_DEP_1)
	v_mul_hi_u32 v6, v3, v1
	v_dual_mov_b32 v1, 0 :: v_dual_add_nc_u32 v19, v3, v6
	s_branch .LBB7_12
.LBB7_11:                               ;   in Loop: Header=BB7_12 Depth=1
	s_or_b32 exec_lo, exec_lo, s25
	v_add_nc_u32_e32 v2, s37, v2
	s_delay_alu instid0(VALU_DEP_1) | instskip(SKIP_1) | instid1(SALU_CYCLE_1)
	v_cmp_le_i32_e32 vcc_lo, s8, v2
	s_or_b32 s38, vcc_lo, s38
	s_and_not1_b32 exec_lo, exec_lo, s38
	s_cbranch_execz .LBB7_50
.LBB7_12:                               ; =>This Loop Header: Depth=1
                                        ;     Child Loop BB7_27 Depth 2
                                        ;       Child Loop BB7_42 Depth 3
                                        ;         Child Loop BB7_45 Depth 4
                                        ;           Child Loop BB7_47 Depth 5
                                        ;             Child Loop BB7_48 Depth 6
	s_delay_alu instid0(VALU_DEP_1) | instskip(NEXT) | instid1(VALU_DEP_1)
	v_dual_mov_b32 v4, v1 :: v_dual_ashrrev_i32 v3, 31, v2
	v_or_b32_e32 v5, s13, v3
	s_delay_alu instid0(VALU_DEP_1) | instskip(SKIP_1) | instid1(SALU_CYCLE_1)
	v_cmp_ne_u64_e32 vcc_lo, 0, v[4:5]
                                        ; implicit-def: $vgpr4_vgpr5
	s_and_saveexec_b32 s1, vcc_lo
	s_xor_b32 s1, exec_lo, s1
	s_cbranch_execz .LBB7_14
; %bb.13:                               ;   in Loop: Header=BB7_12 Depth=1
	v_ashrrev_i32_e32 v0, 31, v2
	s_delay_alu instid0(VALU_DEP_1) | instskip(NEXT) | instid1(VALU_DEP_1)
	v_add_nc_u32_e32 v4, v2, v0
	v_xor_b32_e32 v4, v4, v0
	s_delay_alu instid0(VALU_DEP_1) | instskip(NEXT) | instid1(VALU_DEP_1)
	v_mul_hi_u32 v5, v4, v19
	v_mul_lo_u32 v6, v5, s36
	s_delay_alu instid0(VALU_DEP_1) | instskip(SKIP_1) | instid1(VALU_DEP_2)
	v_dual_sub_nc_u32 v4, v4, v6 :: v_dual_add_nc_u32 v6, 1, v5
	v_xor_b32_e32 v0, s35, v0
	v_subrev_nc_u32_e32 v7, s36, v4
	v_cmp_le_u32_e32 vcc_lo, s36, v4
	s_delay_alu instid0(VALU_DEP_2) | instskip(NEXT) | instid1(VALU_DEP_1)
	v_dual_cndmask_b32 v4, v4, v7 :: v_dual_cndmask_b32 v5, v5, v6
	v_cmp_le_u32_e32 vcc_lo, s36, v4
	s_delay_alu instid0(VALU_DEP_2) | instskip(NEXT) | instid1(VALU_DEP_1)
	v_add_nc_u32_e32 v6, 1, v5
	v_cndmask_b32_e32 v4, v5, v6, vcc_lo
	s_delay_alu instid0(VALU_DEP_1) | instskip(NEXT) | instid1(VALU_DEP_1)
	v_xor_b32_e32 v4, v4, v0
	v_sub_nc_u32_e32 v4, v4, v0
	s_delay_alu instid0(VALU_DEP_1)
	v_ashrrev_i32_e32 v5, 31, v4
.LBB7_14:                               ;   in Loop: Header=BB7_12 Depth=1
	s_and_not1_saveexec_b32 s1, s1
	s_cbranch_execz .LBB7_16
; %bb.15:                               ;   in Loop: Header=BB7_12 Depth=1
	v_mul_hi_u32 v0, v2, v20
	s_delay_alu instid0(VALU_DEP_1) | instskip(SKIP_1) | instid1(VALU_DEP_2)
	v_mul_lo_u32 v4, v0, s12
	v_add_nc_u32_e32 v5, 1, v0
	v_sub_nc_u32_e32 v4, v2, v4
	s_delay_alu instid0(VALU_DEP_1) | instskip(NEXT) | instid1(VALU_DEP_3)
	v_cmp_le_u32_e32 vcc_lo, s12, v4
	v_cndmask_b32_e32 v0, v0, v5, vcc_lo
	v_subrev_nc_u32_e32 v6, s12, v4
	s_delay_alu instid0(VALU_DEP_1) | instskip(NEXT) | instid1(VALU_DEP_1)
	v_dual_cndmask_b32 v4, v4, v6 :: v_dual_add_nc_u32 v5, 1, v0
	v_cmp_le_u32_e32 vcc_lo, s12, v4
	s_delay_alu instid0(VALU_DEP_2) | instskip(NEXT) | instid1(VALU_DEP_1)
	v_cndmask_b32_e32 v0, v0, v5, vcc_lo
	v_mov_b64_e32 v[4:5], v[0:1]
.LBB7_16:                               ;   in Loop: Header=BB7_12 Depth=1
	s_or_b32 exec_lo, exec_lo, s1
	s_delay_alu instid0(VALU_DEP_1) | instskip(NEXT) | instid1(VALU_DEP_1)
	v_mul_u64_e32 v[6:7], s[12:13], v[4:5]
	v_sub_nc_u64_e32 v[6:7], v[2:3], v[6:7]
	s_delay_alu instid0(VALU_DEP_1) | instskip(NEXT) | instid1(VALU_DEP_1)
	v_mul_u64_e32 v[8:9], s[16:17], v[6:7]
	v_dual_mov_b32 v6, v1 :: v_dual_bitop2_b32 v7, s13, v9 bitop3:0x54
	s_delay_alu instid0(VALU_DEP_1) | instskip(SKIP_1) | instid1(SALU_CYCLE_1)
	v_cmp_ne_u64_e32 vcc_lo, 0, v[6:7]
                                        ; implicit-def: $vgpr6_vgpr7
	s_and_saveexec_b32 s1, vcc_lo
	s_xor_b32 s11, exec_lo, s1
	s_cbranch_execz .LBB7_18
; %bb.17:                               ;   in Loop: Header=BB7_12 Depth=1
	s_mov_b32 s25, s24
	s_mov_b32 s41, s10
	s_add_nc_u64 s[2:3], s[12:13], s[24:25]
	s_mov_b32 s45, s10
	s_xor_b64 s[2:3], s[2:3], s[24:25]
	v_dual_mov_b32 v13, v1 :: v_dual_ashrrev_i32 v6, 31, v9
	s_cvt_f32_u32 s1, s2
	s_cvt_f32_u32 s25, s3
	s_sub_nc_u64 s[28:29], 0, s[2:3]
	s_delay_alu instid0(VALU_DEP_1) | instskip(NEXT) | instid1(SALU_CYCLE_1)
	v_mov_b32_e32 v7, v6
	s_fmamk_f32 s1, s25, 0x4f800000, s1
	s_delay_alu instid0(VALU_DEP_1) | instskip(NEXT) | instid1(SALU_CYCLE_2)
	v_add_nc_u64_e32 v[8:9], v[8:9], v[6:7]
	v_s_rcp_f32 s1, s1
	s_delay_alu instid0(VALU_DEP_1) | instskip(NEXT) | instid1(VALU_DEP_2)
	v_xor_b32_e32 v0, v8, v6
	v_xor_b32_e32 v12, v9, v6
	s_delay_alu instid0(TRANS32_DEP_1) | instskip(SKIP_1) | instid1(SALU_CYCLE_2)
	s_mul_f32 s1, s1, 0x5f7ffffc
	v_mov_b32_e32 v17, v1
	s_mul_f32 s25, s1, 0x2f800000
	s_delay_alu instid0(SALU_CYCLE_3) | instskip(NEXT) | instid1(SALU_CYCLE_3)
	s_trunc_f32 s25, s25
	s_fmamk_f32 s1, s25, 0xcf800000, s1
	s_cvt_u32_f32 s27, s25
	s_delay_alu instid0(SALU_CYCLE_2) | instskip(NEXT) | instid1(SALU_CYCLE_3)
	s_cvt_u32_f32 s26, s1
	s_mul_u64 s[42:43], s[28:29], s[26:27]
	s_delay_alu instid0(SALU_CYCLE_1)
	s_mul_hi_u32 s47, s26, s43
	s_mul_i32 s46, s26, s43
	s_mul_hi_u32 s40, s26, s42
	s_mul_i32 s25, s27, s42
	s_add_nc_u64 s[40:41], s[40:41], s[46:47]
	s_mul_hi_u32 s1, s27, s42
	s_mul_hi_u32 s39, s27, s43
	s_add_co_u32 s25, s40, s25
	s_add_co_ci_u32 s44, s41, s1
	s_mul_i32 s42, s27, s43
	s_add_co_ci_u32 s43, s39, 0
	s_delay_alu instid0(SALU_CYCLE_1) | instskip(SKIP_3) | instid1(SALU_CYCLE_1)
	s_add_nc_u64 s[40:41], s[44:45], s[42:43]
	s_mov_b32 s43, s10
	s_add_co_u32 s26, s26, s40
	s_cselect_b32 s1, -1, 0
	s_cmp_lg_u32 s1, 0
	s_add_co_ci_u32 s27, s27, s41
	s_mov_b32 s41, s10
	s_mul_u64 s[28:29], s[28:29], s[26:27]
	s_delay_alu instid0(SALU_CYCLE_1)
	s_mul_hi_u32 s45, s26, s29
	s_mul_i32 s44, s26, s29
	s_mul_hi_u32 s42, s26, s28
	s_mul_i32 s25, s27, s28
	s_add_nc_u64 s[42:43], s[42:43], s[44:45]
	s_mul_hi_u32 s1, s27, s28
	s_mul_hi_u32 s39, s27, s29
	s_add_co_u32 s25, s42, s25
	s_add_co_ci_u32 s40, s43, s1
	s_mul_i32 s28, s27, s29
	s_add_co_ci_u32 s29, s39, 0
	s_delay_alu instid0(SALU_CYCLE_1) | instskip(NEXT) | instid1(SALU_CYCLE_1)
	s_add_nc_u64 s[28:29], s[40:41], s[28:29]
	s_add_co_u32 s26, s26, s28
	s_cselect_b32 s1, -1, 0
	v_mul_hi_u32 v16, v0, s26
	s_cmp_lg_u32 s1, 0
	s_add_co_ci_u32 s40, s27, s29
	s_and_b64 s[28:29], s[26:27], s[18:19]
	v_mul_u64_e32 v[10:11], s[40:41], v[0:1]
	v_mul_u64_e32 v[8:9], s[28:29], v[12:13]
	;; [unrolled: 1-line block ×3, first 2 shown]
	s_delay_alu instid0(VALU_DEP_3) | instskip(NEXT) | instid1(VALU_DEP_1)
	v_add_nc_u64_e32 v[10:11], v[16:17], v[10:11]
	v_add_co_u32 v5, vcc_lo, v10, v8
	s_delay_alu instid0(VALU_DEP_2) | instskip(NEXT) | instid1(VALU_DEP_4)
	v_add_co_ci_u32_e32 v16, vcc_lo, v11, v9, vcc_lo
	v_add_co_ci_u32_e32 v15, vcc_lo, 0, v15, vcc_lo
	s_delay_alu instid0(VALU_DEP_1) | instskip(NEXT) | instid1(VALU_DEP_1)
	v_add_nc_u64_e32 v[8:9], v[16:17], v[14:15]
	v_mul_u64_e32 v[10:11], s[2:3], v[8:9]
	s_delay_alu instid0(VALU_DEP_1) | instskip(NEXT) | instid1(VALU_DEP_2)
	v_sub_nc_u32_e32 v5, v12, v11
	v_sub_co_u32 v0, vcc_lo, v0, v10
	s_delay_alu instid0(VALU_DEP_1) | instskip(NEXT) | instid1(VALU_DEP_3)
	v_sub_co_ci_u32_e64 v14, null, v12, v11, vcc_lo
	v_subrev_co_ci_u32_e64 v5, null, s3, v5, vcc_lo
	s_delay_alu instid0(VALU_DEP_3) | instskip(SKIP_1) | instid1(VALU_DEP_3)
	v_sub_co_u32 v7, s1, v0, s2
	v_add_nc_u64_e32 v[12:13], 1, v[8:9]
	v_subrev_co_ci_u32_e64 v5, null, 0, v5, s1
	s_delay_alu instid0(VALU_DEP_3) | instskip(SKIP_1) | instid1(VALU_DEP_3)
	v_cmp_le_u32_e32 vcc_lo, s2, v7
	v_cndmask_b32_e64 v7, 0, -1, vcc_lo
	v_cmp_le_u32_e32 vcc_lo, s3, v5
	v_cndmask_b32_e64 v10, 0, -1, vcc_lo
	v_cmp_le_u32_e32 vcc_lo, s2, v0
	v_cndmask_b32_e64 v0, 0, -1, vcc_lo
	v_cmp_le_u32_e32 vcc_lo, s3, v14
	v_cndmask_b32_e64 v15, 0, -1, vcc_lo
	v_cmp_eq_u32_e32 vcc_lo, s3, v5
	v_cndmask_b32_e32 v5, v10, v7, vcc_lo
	v_cmp_eq_u32_e32 vcc_lo, s3, v14
	v_add_nc_u64_e32 v[10:11], 2, v[8:9]
	v_cndmask_b32_e32 v0, v15, v0, vcc_lo
	s_delay_alu instid0(VALU_DEP_4) | instskip(NEXT) | instid1(VALU_DEP_3)
	v_cmp_ne_u32_e32 vcc_lo, 0, v5
	v_cndmask_b32_e32 v5, v13, v11, vcc_lo
	s_delay_alu instid0(VALU_DEP_3) | instskip(NEXT) | instid1(VALU_DEP_1)
	v_cmp_ne_u32_e64 s1, 0, v0
	v_dual_cndmask_b32 v0, v12, v10, vcc_lo :: v_dual_cndmask_b32 v5, v9, v5, s1
	s_delay_alu instid0(VALU_DEP_1) | instskip(NEXT) | instid1(VALU_DEP_1)
	v_dual_cndmask_b32 v0, v8, v0, s1 :: v_dual_bitop2_b32 v6, s24, v6 bitop3:0x14
	v_dual_mov_b32 v7, v6 :: v_dual_bitop2_b32 v9, v5, v6 bitop3:0x14
	s_delay_alu instid0(VALU_DEP_2) | instskip(NEXT) | instid1(VALU_DEP_1)
	v_xor_b32_e32 v8, v0, v6
	v_sub_nc_u64_e32 v[6:7], v[8:9], v[6:7]
                                        ; implicit-def: $vgpr8_vgpr9
.LBB7_18:                               ;   in Loop: Header=BB7_12 Depth=1
	s_and_not1_saveexec_b32 s1, s11
	s_cbranch_execz .LBB7_20
; %bb.19:                               ;   in Loop: Header=BB7_12 Depth=1
	s_delay_alu instid0(VALU_DEP_3) | instskip(NEXT) | instid1(VALU_DEP_1)
	v_mul_hi_u32 v0, v8, v20
	v_mul_lo_u32 v5, v0, s12
	s_delay_alu instid0(VALU_DEP_1) | instskip(NEXT) | instid1(VALU_DEP_1)
	v_dual_add_nc_u32 v6, 1, v0 :: v_dual_sub_nc_u32 v5, v8, v5
	v_subrev_nc_u32_e32 v7, s12, v5
	v_cmp_le_u32_e32 vcc_lo, s12, v5
	s_delay_alu instid0(VALU_DEP_2) | instskip(NEXT) | instid1(VALU_DEP_1)
	v_dual_cndmask_b32 v5, v5, v7 :: v_dual_cndmask_b32 v0, v0, v6
	v_cmp_le_u32_e32 vcc_lo, s12, v5
	s_delay_alu instid0(VALU_DEP_2) | instskip(NEXT) | instid1(VALU_DEP_1)
	v_add_nc_u32_e32 v6, 1, v0
	v_cndmask_b32_e32 v6, v0, v6, vcc_lo
.LBB7_20:                               ;   in Loop: Header=BB7_12 Depth=1
	s_or_b32 exec_lo, exec_lo, s1
	v_add_nc_u64_e32 v[10:11], 1, v[2:3]
	s_delay_alu instid0(VALU_DEP_1) | instskip(NEXT) | instid1(VALU_DEP_1)
	v_mad_nc_u64_u32 v[8:9], v10, s16, -1
	v_mad_u32 v0, v11, s16, v9
	s_delay_alu instid0(VALU_DEP_1) | instskip(NEXT) | instid1(VALU_DEP_1)
	v_mad_u32 v9, v10, s17, v0
	v_dual_mov_b32 v10, v1 :: v_dual_bitop2_b32 v11, s13, v9 bitop3:0x54
	s_delay_alu instid0(VALU_DEP_1) | instskip(SKIP_1) | instid1(SALU_CYCLE_1)
	v_cmp_ne_u64_e32 vcc_lo, 0, v[10:11]
                                        ; implicit-def: $vgpr10_vgpr11
	s_and_saveexec_b32 s1, vcc_lo
	s_xor_b32 s11, exec_lo, s1
	s_cbranch_execnz .LBB7_23
; %bb.21:                               ;   in Loop: Header=BB7_12 Depth=1
	s_and_not1_saveexec_b32 s1, s11
	s_cbranch_execnz .LBB7_24
.LBB7_22:                               ;   in Loop: Header=BB7_12 Depth=1
	s_or_b32 exec_lo, exec_lo, s1
	s_and_saveexec_b32 s25, s0
	s_cbranch_execz .LBB7_11
	s_branch .LBB7_25
.LBB7_23:                               ;   in Loop: Header=BB7_12 Depth=1
	s_mov_b32 s25, s24
	s_mov_b32 s41, s10
	s_add_nc_u64 s[2:3], s[12:13], s[24:25]
	s_mov_b32 s45, s10
	s_xor_b64 s[2:3], s[2:3], s[24:25]
	v_dual_mov_b32 v15, v1 :: v_dual_ashrrev_i32 v10, 31, v9
	s_cvt_f32_u32 s1, s2
	s_cvt_f32_u32 s25, s3
	s_sub_nc_u64 s[28:29], 0, s[2:3]
	s_delay_alu instid0(VALU_DEP_1) | instskip(NEXT) | instid1(SALU_CYCLE_1)
	v_mov_b32_e32 v11, v10
	s_fmamk_f32 s1, s25, 0x4f800000, s1
	s_delay_alu instid0(VALU_DEP_1) | instskip(NEXT) | instid1(SALU_CYCLE_2)
	v_add_nc_u64_e32 v[8:9], v[8:9], v[10:11]
	v_s_rcp_f32 s1, s1
	s_delay_alu instid0(VALU_DEP_1) | instskip(NEXT) | instid1(VALU_DEP_2)
	v_xor_b32_e32 v0, v8, v10
	v_xor_b32_e32 v14, v9, v10
	s_delay_alu instid0(TRANS32_DEP_1) | instskip(SKIP_1) | instid1(SALU_CYCLE_2)
	s_mul_f32 s1, s1, 0x5f7ffffc
	v_dual_mov_b32 v23, v1 :: v_dual_bitop2_b32 v10, s24, v10 bitop3:0x14
	s_mul_f32 s25, s1, 0x2f800000
	s_delay_alu instid0(SALU_CYCLE_3) | instskip(NEXT) | instid1(SALU_CYCLE_3)
	s_trunc_f32 s25, s25
	s_fmamk_f32 s1, s25, 0xcf800000, s1
	s_cvt_u32_f32 s27, s25
	s_delay_alu instid0(SALU_CYCLE_2) | instskip(NEXT) | instid1(SALU_CYCLE_3)
	s_cvt_u32_f32 s26, s1
	s_mul_u64 s[42:43], s[28:29], s[26:27]
	s_delay_alu instid0(SALU_CYCLE_1)
	s_mul_hi_u32 s47, s26, s43
	s_mul_i32 s46, s26, s43
	s_mul_hi_u32 s40, s26, s42
	s_mul_i32 s25, s27, s42
	s_add_nc_u64 s[40:41], s[40:41], s[46:47]
	s_mul_hi_u32 s1, s27, s42
	s_mul_hi_u32 s39, s27, s43
	s_add_co_u32 s25, s40, s25
	s_add_co_ci_u32 s44, s41, s1
	s_mul_i32 s42, s27, s43
	s_add_co_ci_u32 s43, s39, 0
	s_delay_alu instid0(SALU_CYCLE_1) | instskip(SKIP_3) | instid1(SALU_CYCLE_1)
	s_add_nc_u64 s[40:41], s[44:45], s[42:43]
	s_mov_b32 s43, s10
	s_add_co_u32 s26, s26, s40
	s_cselect_b32 s1, -1, 0
	s_cmp_lg_u32 s1, 0
	s_add_co_ci_u32 s27, s27, s41
	s_mov_b32 s41, s10
	s_mul_u64 s[28:29], s[28:29], s[26:27]
	s_delay_alu instid0(SALU_CYCLE_1)
	s_mul_hi_u32 s45, s26, s29
	s_mul_i32 s44, s26, s29
	s_mul_hi_u32 s42, s26, s28
	s_mul_i32 s25, s27, s28
	s_add_nc_u64 s[42:43], s[42:43], s[44:45]
	s_mul_hi_u32 s1, s27, s28
	s_mul_hi_u32 s39, s27, s29
	s_add_co_u32 s25, s42, s25
	s_add_co_ci_u32 s40, s43, s1
	s_mul_i32 s28, s27, s29
	s_add_co_ci_u32 s29, s39, 0
	s_delay_alu instid0(SALU_CYCLE_1) | instskip(NEXT) | instid1(SALU_CYCLE_1)
	s_add_nc_u64 s[28:29], s[40:41], s[28:29]
	s_add_co_u32 s26, s26, s28
	s_cselect_b32 s1, -1, 0
	v_mul_hi_u32 v22, v0, s26
	s_cmp_lg_u32 s1, 0
	s_add_co_ci_u32 s40, s27, s29
	s_and_b64 s[28:29], s[26:27], s[18:19]
	v_mul_u64_e32 v[12:13], s[40:41], v[0:1]
	v_mul_u64_e32 v[8:9], s[28:29], v[14:15]
	;; [unrolled: 1-line block ×3, first 2 shown]
	s_delay_alu instid0(VALU_DEP_3) | instskip(NEXT) | instid1(VALU_DEP_1)
	v_add_nc_u64_e32 v[12:13], v[22:23], v[12:13]
	v_add_co_u32 v3, vcc_lo, v12, v8
	s_delay_alu instid0(VALU_DEP_2) | instskip(NEXT) | instid1(VALU_DEP_4)
	v_add_co_ci_u32_e32 v22, vcc_lo, v13, v9, vcc_lo
	v_add_co_ci_u32_e32 v17, vcc_lo, 0, v17, vcc_lo
	s_delay_alu instid0(VALU_DEP_1) | instskip(NEXT) | instid1(VALU_DEP_1)
	v_add_nc_u64_e32 v[8:9], v[22:23], v[16:17]
	v_mul_u64_e32 v[12:13], s[2:3], v[8:9]
	s_delay_alu instid0(VALU_DEP_1) | instskip(NEXT) | instid1(VALU_DEP_2)
	v_sub_nc_u32_e32 v3, v14, v13
	v_sub_co_u32 v0, vcc_lo, v0, v12
	s_delay_alu instid0(VALU_DEP_1) | instskip(NEXT) | instid1(VALU_DEP_3)
	v_sub_co_ci_u32_e64 v7, null, v14, v13, vcc_lo
	v_subrev_co_ci_u32_e64 v3, null, s3, v3, vcc_lo
	s_delay_alu instid0(VALU_DEP_3) | instskip(SKIP_1) | instid1(VALU_DEP_3)
	v_sub_co_u32 v5, s1, v0, s2
	v_add_nc_u64_e32 v[12:13], 2, v[8:9]
	v_subrev_co_ci_u32_e64 v3, null, 0, v3, s1
	s_delay_alu instid0(VALU_DEP_3) | instskip(SKIP_2) | instid1(VALU_DEP_4)
	v_cmp_le_u32_e32 vcc_lo, s2, v5
	v_add_nc_u64_e32 v[14:15], 1, v[8:9]
	v_cndmask_b32_e64 v5, 0, -1, vcc_lo
	v_cmp_le_u32_e32 vcc_lo, s3, v3
	v_cndmask_b32_e64 v11, 0, -1, vcc_lo
	v_cmp_le_u32_e32 vcc_lo, s2, v0
	;; [unrolled: 2-line block ×3, first 2 shown]
	v_cndmask_b32_e64 v16, 0, -1, vcc_lo
	v_cmp_eq_u32_e32 vcc_lo, s3, v3
	v_cndmask_b32_e32 v3, v11, v5, vcc_lo
	v_cmp_eq_u32_e32 vcc_lo, s3, v7
	s_delay_alu instid0(VALU_DEP_4) | instskip(NEXT) | instid1(VALU_DEP_3)
	v_cndmask_b32_e32 v0, v16, v0, vcc_lo
	v_cmp_ne_u32_e32 vcc_lo, 0, v3
	v_cndmask_b32_e32 v3, v15, v13, vcc_lo
	s_delay_alu instid0(VALU_DEP_3) | instskip(NEXT) | instid1(VALU_DEP_1)
	v_cmp_ne_u32_e64 s1, 0, v0
	v_dual_cndmask_b32 v0, v14, v12, vcc_lo :: v_dual_cndmask_b32 v3, v9, v3, s1
	s_delay_alu instid0(VALU_DEP_1) | instskip(NEXT) | instid1(VALU_DEP_2)
	v_dual_cndmask_b32 v0, v8, v0, s1 :: v_dual_mov_b32 v11, v10
	v_xor_b32_e32 v9, v3, v10
	s_delay_alu instid0(VALU_DEP_2) | instskip(NEXT) | instid1(VALU_DEP_1)
	v_xor_b32_e32 v8, v0, v10
	v_sub_nc_u64_e32 v[10:11], v[8:9], v[10:11]
                                        ; implicit-def: $vgpr8_vgpr9
	s_and_not1_saveexec_b32 s1, s11
	s_cbranch_execz .LBB7_22
.LBB7_24:                               ;   in Loop: Header=BB7_12 Depth=1
	v_mul_hi_u32 v0, v8, v20
	s_delay_alu instid0(VALU_DEP_1) | instskip(NEXT) | instid1(VALU_DEP_1)
	v_mul_lo_u32 v3, v0, s12
	v_dual_add_nc_u32 v5, 1, v0 :: v_dual_sub_nc_u32 v3, v8, v3
	s_delay_alu instid0(VALU_DEP_1) | instskip(SKIP_1) | instid1(VALU_DEP_2)
	v_subrev_nc_u32_e32 v7, s12, v3
	v_cmp_le_u32_e32 vcc_lo, s12, v3
	v_dual_cndmask_b32 v3, v3, v7 :: v_dual_cndmask_b32 v0, v0, v5
	s_delay_alu instid0(VALU_DEP_1) | instskip(NEXT) | instid1(VALU_DEP_2)
	v_cmp_le_u32_e32 vcc_lo, s12, v3
	v_add_nc_u32_e32 v5, 1, v0
	s_delay_alu instid0(VALU_DEP_1)
	v_cndmask_b32_e32 v10, v0, v5, vcc_lo
	s_or_b32 exec_lo, exec_lo, s1
	s_and_saveexec_b32 s25, s0
	s_cbranch_execz .LBB7_11
.LBB7_25:                               ;   in Loop: Header=BB7_12 Depth=1
	v_mad_u32 v0, v4, s16, v6
	v_mul_lo_u32 v4, v2, s9
	s_mov_b32 s39, 0
	s_delay_alu instid0(VALU_DEP_2) | instskip(SKIP_1) | instid1(VALU_DEP_3)
	v_mul_lo_u32 v6, s6, v0
	v_sub_nc_u32_e32 v3, v10, v0
	v_ashrrev_i32_e32 v5, 31, v4
	s_delay_alu instid0(VALU_DEP_1) | instskip(NEXT) | instid1(VALU_DEP_3)
	v_lshl_add_u64 v[4:5], v[4:5], 1, s[22:23]
	v_dual_ashrrev_i32 v7, 31, v6 :: v_dual_add_nc_u32 v3, 1, v3
	s_delay_alu instid0(VALU_DEP_1) | instskip(NEXT) | instid1(VALU_DEP_2)
	v_lshl_add_u64 v[6:7], v[6:7], 1, s[20:21]
	v_cvt_f32_i32_e32 v0, v3
	v_cmp_lt_i32_e64 s1, 0, v3
	s_delay_alu instid0(VALU_DEP_2) | instskip(NEXT) | instid1(VALU_DEP_1)
	v_bfe_u32 v8, v0, 16, 1
	v_add3_u32 v0, v0, v8, 0x7fff
	v_mov_b32_e32 v8, v18
	s_delay_alu instid0(VALU_DEP_2)
	v_and_b32_e32 v21, 0xffff0000, v0
	s_branch .LBB7_27
.LBB7_26:                               ;   in Loop: Header=BB7_27 Depth=2
	v_add_nc_u32_e32 v8, s31, v8
	s_delay_alu instid0(VALU_DEP_1) | instskip(SKIP_1) | instid1(SALU_CYCLE_1)
	v_cmp_le_i32_e32 vcc_lo, s9, v8
	s_or_b32 s39, vcc_lo, s39
	s_and_not1_b32 exec_lo, exec_lo, s39
	s_cbranch_execz .LBB7_11
.LBB7_27:                               ;   Parent Loop BB7_12 Depth=1
                                        ; =>  This Loop Header: Depth=2
                                        ;       Child Loop BB7_42 Depth 3
                                        ;         Child Loop BB7_45 Depth 4
                                        ;           Child Loop BB7_47 Depth 5
                                        ;             Child Loop BB7_48 Depth 6
	s_mov_b32 s11, s15
	v_mov_b32_e32 v9, v1
	s_cmp_lg_u64 s[10:11], 0
                                        ; implicit-def: $vgpr10_vgpr11
	s_cselect_b32 s2, -1, 0
	s_delay_alu instid0(SALU_CYCLE_1) | instskip(NEXT) | instid1(SALU_CYCLE_1)
	s_and_saveexec_b32 s3, s2
	s_xor_b32 s3, exec_lo, s3
	s_cbranch_execz .LBB7_29
; %bb.28:                               ;   in Loop: Header=BB7_27 Depth=2
	s_ashr_i32 s26, s15, 31
	s_mov_b32 s45, s10
	s_mov_b32 s27, s26
	;; [unrolled: 1-line block ×3, first 2 shown]
	s_add_nc_u64 s[28:29], s[14:15], s[26:27]
	v_add_nc_u64_e32 v[10:11], 0, v[8:9]
	s_xor_b64 s[28:29], s[28:29], s[26:27]
	s_delay_alu instid0(SALU_CYCLE_1) | instskip(SKIP_2) | instid1(VALU_DEP_1)
	s_cvt_f32_u32 s2, s28
	s_cvt_f32_u32 s11, s29
	s_sub_nc_u64 s[42:43], 0, s[28:29]
	v_mov_b32_e32 v0, v10
	s_delay_alu instid0(SALU_CYCLE_1) | instskip(NEXT) | instid1(SALU_CYCLE_3)
	s_fmamk_f32 s2, s11, 0x4f800000, s2
	v_s_rcp_f32 s2, s2
	s_delay_alu instid0(TRANS32_DEP_1) | instskip(NEXT) | instid1(SALU_CYCLE_3)
	s_mul_f32 s2, s2, 0x5f7ffffc
	s_mul_f32 s11, s2, 0x2f800000
	s_delay_alu instid0(SALU_CYCLE_3) | instskip(NEXT) | instid1(SALU_CYCLE_3)
	s_trunc_f32 s11, s11
	s_fmamk_f32 s2, s11, 0xcf800000, s2
	s_cvt_u32_f32 s41, s11
	s_delay_alu instid0(SALU_CYCLE_2) | instskip(NEXT) | instid1(SALU_CYCLE_3)
	s_cvt_u32_f32 s40, s2
	s_mul_u64 s[46:47], s[42:43], s[40:41]
	s_delay_alu instid0(SALU_CYCLE_1)
	s_mul_hi_u32 s51, s40, s47
	s_mul_i32 s50, s40, s47
	s_mul_hi_u32 s44, s40, s46
	s_mul_i32 s11, s41, s46
	s_add_nc_u64 s[44:45], s[44:45], s[50:51]
	s_mul_hi_u32 s2, s41, s46
	s_mul_hi_u32 s27, s41, s47
	s_add_co_u32 s11, s44, s11
	s_add_co_ci_u32 s48, s45, s2
	s_mul_i32 s46, s41, s47
	s_add_co_ci_u32 s47, s27, 0
	s_delay_alu instid0(SALU_CYCLE_1) | instskip(SKIP_3) | instid1(SALU_CYCLE_1)
	s_add_nc_u64 s[44:45], s[48:49], s[46:47]
	s_mov_b32 s47, s10
	s_add_co_u32 s40, s40, s44
	s_cselect_b32 s2, -1, 0
	s_cmp_lg_u32 s2, 0
	s_add_co_ci_u32 s41, s41, s45
	s_mov_b32 s45, s10
	s_mul_u64 s[42:43], s[42:43], s[40:41]
	s_delay_alu instid0(SALU_CYCLE_1)
	s_mul_hi_u32 s49, s40, s43
	s_mul_i32 s48, s40, s43
	s_mul_hi_u32 s46, s40, s42
	s_mul_i32 s11, s41, s42
	s_add_nc_u64 s[46:47], s[46:47], s[48:49]
	s_mul_hi_u32 s2, s41, s42
	s_mul_hi_u32 s27, s41, s43
	s_add_co_u32 s11, s46, s11
	s_add_co_ci_u32 s44, s47, s2
	s_mul_i32 s42, s41, s43
	s_add_co_ci_u32 s43, s27, 0
	s_delay_alu instid0(SALU_CYCLE_1) | instskip(NEXT) | instid1(SALU_CYCLE_1)
	s_add_nc_u64 s[42:43], s[44:45], s[42:43]
	s_add_co_u32 s2, s40, s42
	s_cselect_b32 s11, -1, 0
	s_delay_alu instid0(SALU_CYCLE_1) | instskip(SKIP_4) | instid1(VALU_DEP_1)
	s_cmp_lg_u32 s11, 0
	s_add_co_ci_u32 s44, s41, s43
	s_and_b64 s[40:41], s[2:3], s[18:19]
	v_mul_u64_e32 v[12:13], s[44:45], v[0:1]
	v_mul_hi_u32 v0, v10, s2
	v_add_nc_u64_e32 v[12:13], v[0:1], v[12:13]
	v_mov_b32_e32 v0, v11
	s_delay_alu instid0(VALU_DEP_1) | instskip(SKIP_1) | instid1(VALU_DEP_2)
	v_mul_u64_e32 v[14:15], s[40:41], v[0:1]
	v_mul_u64_e32 v[16:17], s[44:45], v[0:1]
	v_add_co_u32 v0, vcc_lo, v12, v14
	s_delay_alu instid0(VALU_DEP_3) | instskip(NEXT) | instid1(VALU_DEP_3)
	v_add_co_ci_u32_e32 v0, vcc_lo, v13, v15, vcc_lo
	v_add_co_ci_u32_e32 v17, vcc_lo, 0, v17, vcc_lo
	s_delay_alu instid0(VALU_DEP_1) | instskip(NEXT) | instid1(VALU_DEP_1)
	v_add_nc_u64_e32 v[12:13], v[0:1], v[16:17]
	v_mul_u64_e32 v[14:15], s[28:29], v[12:13]
	v_add_nc_u64_e32 v[16:17], 2, v[12:13]
	s_delay_alu instid0(VALU_DEP_2) | instskip(NEXT) | instid1(VALU_DEP_3)
	v_sub_nc_u32_e32 v0, v11, v15
	v_sub_co_u32 v10, vcc_lo, v10, v14
	s_delay_alu instid0(VALU_DEP_1) | instskip(NEXT) | instid1(VALU_DEP_3)
	v_sub_co_ci_u32_e64 v15, null, v11, v15, vcc_lo
	v_subrev_co_ci_u32_e64 v0, null, s29, v0, vcc_lo
	s_delay_alu instid0(VALU_DEP_3) | instskip(SKIP_1) | instid1(VALU_DEP_3)
	v_sub_co_u32 v14, s2, v10, s28
	v_cmp_le_u32_e32 vcc_lo, s28, v10
	v_subrev_co_ci_u32_e64 v0, null, 0, v0, s2
	s_delay_alu instid0(VALU_DEP_3) | instskip(SKIP_2) | instid1(VALU_DEP_4)
	v_cmp_le_u32_e64 s2, s28, v14
	v_add_nc_u64_e32 v[10:11], 1, v[12:13]
	v_cndmask_b32_e64 v23, 0, -1, vcc_lo
	v_cmp_eq_u32_e32 vcc_lo, s29, v0
	s_delay_alu instid0(VALU_DEP_4) | instskip(SKIP_1) | instid1(VALU_DEP_1)
	v_cndmask_b32_e64 v14, 0, -1, s2
	v_cmp_le_u32_e64 s2, s29, v0
	v_cndmask_b32_e64 v22, 0, -1, s2
	v_cmp_eq_u32_e64 s2, s29, v15
	s_delay_alu instid0(VALU_DEP_2) | instskip(SKIP_2) | instid1(VALU_DEP_3)
	v_cndmask_b32_e32 v0, v22, v14, vcc_lo
	v_cmp_le_u32_e32 vcc_lo, s29, v15
	v_cndmask_b32_e64 v14, 0, -1, vcc_lo
	v_cmp_ne_u32_e32 vcc_lo, 0, v0
	s_delay_alu instid0(VALU_DEP_2) | instskip(SKIP_1) | instid1(VALU_DEP_2)
	v_dual_cndmask_b32 v0, v14, v23, s2 :: v_dual_cndmask_b32 v11, v11, v17, vcc_lo
	v_cndmask_b32_e32 v10, v10, v16, vcc_lo
	v_cmp_ne_u32_e32 vcc_lo, 0, v0
	s_delay_alu instid0(VALU_DEP_2) | instskip(SKIP_1) | instid1(VALU_DEP_2)
	v_dual_cndmask_b32 v12, v12, v10, vcc_lo :: v_dual_cndmask_b32 v0, v13, v11, vcc_lo
	v_dual_mov_b32 v11, s26 :: v_dual_mov_b32 v10, s26
	v_xor_b32_e32 v12, s26, v12
	s_delay_alu instid0(VALU_DEP_3) | instskip(NEXT) | instid1(VALU_DEP_1)
	v_xor_b32_e32 v13, s26, v0
	v_sub_nc_u64_e32 v[10:11], v[12:13], v[10:11]
.LBB7_29:                               ;   in Loop: Header=BB7_27 Depth=2
	s_and_not1_saveexec_b32 s2, s3
	s_cbranch_execz .LBB7_31
; %bb.30:                               ;   in Loop: Header=BB7_27 Depth=2
	v_cvt_f32_u32_e32 v0, s14
	s_sub_co_i32 s3, 0, s14
	s_delay_alu instid0(VALU_DEP_1) | instskip(SKIP_1) | instid1(TRANS32_DEP_1)
	v_rcp_iflag_f32_e32 v0, v0
	v_nop
	v_mul_f32_e32 v0, 0x4f7ffffe, v0
	s_delay_alu instid0(VALU_DEP_1) | instskip(NEXT) | instid1(VALU_DEP_1)
	v_cvt_u32_f32_e32 v0, v0
	v_mul_lo_u32 v10, s3, v0
	s_delay_alu instid0(VALU_DEP_1) | instskip(NEXT) | instid1(VALU_DEP_1)
	v_mul_hi_u32 v10, v0, v10
	v_add_nc_u32_e32 v0, v0, v10
	s_delay_alu instid0(VALU_DEP_1) | instskip(NEXT) | instid1(VALU_DEP_1)
	v_mul_hi_u32 v0, v8, v0
	v_mul_lo_u32 v10, v0, s14
	s_delay_alu instid0(VALU_DEP_1) | instskip(NEXT) | instid1(VALU_DEP_1)
	v_dual_add_nc_u32 v11, 1, v0 :: v_dual_sub_nc_u32 v10, v8, v10
	v_subrev_nc_u32_e32 v12, s14, v10
	v_cmp_le_u32_e32 vcc_lo, s14, v10
	s_delay_alu instid0(VALU_DEP_2) | instskip(NEXT) | instid1(VALU_DEP_1)
	v_dual_cndmask_b32 v10, v10, v12, vcc_lo :: v_dual_cndmask_b32 v0, v0, v11, vcc_lo
	v_cmp_le_u32_e32 vcc_lo, s14, v10
	s_delay_alu instid0(VALU_DEP_2) | instskip(NEXT) | instid1(VALU_DEP_1)
	v_add_nc_u32_e32 v11, 1, v0
	v_cndmask_b32_e32 v0, v0, v11, vcc_lo
	s_delay_alu instid0(VALU_DEP_1)
	v_mov_b64_e32 v[10:11], v[0:1]
.LBB7_31:                               ;   in Loop: Header=BB7_27 Depth=2
	s_or_b32 exec_lo, exec_lo, s2
	s_delay_alu instid0(VALU_DEP_1) | instskip(NEXT) | instid1(VALU_DEP_1)
	v_mul_u64_e32 v[12:13], s[14:15], v[10:11]
	v_sub_nc_u64_e32 v[12:13], v[8:9], v[12:13]
	s_delay_alu instid0(VALU_DEP_1) | instskip(NEXT) | instid1(VALU_DEP_1)
	v_mul_u64_e32 v[14:15], s[6:7], v[12:13]
	v_dual_mov_b32 v12, v1 :: v_dual_bitop2_b32 v13, s15, v15 bitop3:0x54
	s_delay_alu instid0(VALU_DEP_1) | instskip(SKIP_1) | instid1(SALU_CYCLE_1)
	v_cmp_ne_u64_e32 vcc_lo, 0, v[12:13]
                                        ; implicit-def: $vgpr12_vgpr13
	s_and_saveexec_b32 s2, vcc_lo
	s_xor_b32 s3, exec_lo, s2
	s_cbranch_execz .LBB7_33
; %bb.32:                               ;   in Loop: Header=BB7_27 Depth=2
	s_ashr_i32 s26, s15, 31
	s_mov_b32 s45, s10
	s_mov_b32 s27, s26
	;; [unrolled: 1-line block ×3, first 2 shown]
	s_add_nc_u64 s[28:29], s[14:15], s[26:27]
	v_dual_mov_b32 v23, v1 :: v_dual_ashrrev_i32 v12, 31, v15
	s_xor_b64 s[28:29], s[28:29], s[26:27]
	v_mov_b32_e32 v27, v1
	s_cvt_f32_u32 s2, s28
	s_cvt_f32_u32 s11, s29
	s_sub_nc_u64 s[42:43], 0, s[28:29]
	v_mov_b32_e32 v13, v12
	s_delay_alu instid0(SALU_CYCLE_1) | instskip(NEXT) | instid1(VALU_DEP_1)
	s_fmamk_f32 s2, s11, 0x4f800000, s2
	v_add_nc_u64_e32 v[14:15], v[14:15], v[12:13]
	s_delay_alu instid0(SALU_CYCLE_2) | instskip(NEXT) | instid1(VALU_DEP_1)
	v_s_rcp_f32 s2, s2
	v_xor_b32_e32 v0, v14, v12
	s_delay_alu instid0(VALU_DEP_2) | instskip(NEXT) | instid1(TRANS32_DEP_1)
	v_xor_b32_e32 v22, v15, v12
	s_mul_f32 s2, s2, 0x5f7ffffc
	v_xor_b32_e32 v12, s26, v12
	s_delay_alu instid0(SALU_CYCLE_2) | instskip(NEXT) | instid1(SALU_CYCLE_3)
	s_mul_f32 s11, s2, 0x2f800000
	s_trunc_f32 s11, s11
	s_delay_alu instid0(SALU_CYCLE_3) | instskip(SKIP_1) | instid1(SALU_CYCLE_2)
	s_fmamk_f32 s2, s11, 0xcf800000, s2
	s_cvt_u32_f32 s41, s11
	s_cvt_u32_f32 s40, s2
	s_delay_alu instid0(SALU_CYCLE_3) | instskip(NEXT) | instid1(SALU_CYCLE_1)
	s_mul_u64 s[46:47], s[42:43], s[40:41]
	s_mul_hi_u32 s51, s40, s47
	s_mul_i32 s50, s40, s47
	s_mul_hi_u32 s44, s40, s46
	s_mul_i32 s11, s41, s46
	s_add_nc_u64 s[44:45], s[44:45], s[50:51]
	s_mul_hi_u32 s2, s41, s46
	s_mul_hi_u32 s27, s41, s47
	s_add_co_u32 s11, s44, s11
	s_add_co_ci_u32 s48, s45, s2
	s_mul_i32 s46, s41, s47
	s_add_co_ci_u32 s47, s27, 0
	s_delay_alu instid0(SALU_CYCLE_1) | instskip(SKIP_3) | instid1(SALU_CYCLE_1)
	s_add_nc_u64 s[44:45], s[48:49], s[46:47]
	s_mov_b32 s47, s10
	s_add_co_u32 s40, s40, s44
	s_cselect_b32 s2, -1, 0
	s_cmp_lg_u32 s2, 0
	s_add_co_ci_u32 s41, s41, s45
	s_mov_b32 s45, s10
	s_mul_u64 s[42:43], s[42:43], s[40:41]
	s_delay_alu instid0(SALU_CYCLE_1)
	s_mul_hi_u32 s49, s40, s43
	s_mul_i32 s48, s40, s43
	s_mul_hi_u32 s46, s40, s42
	s_mul_i32 s11, s41, s42
	s_add_nc_u64 s[46:47], s[46:47], s[48:49]
	s_mul_hi_u32 s2, s41, s42
	s_mul_hi_u32 s27, s41, s43
	s_add_co_u32 s11, s46, s11
	s_add_co_ci_u32 s44, s47, s2
	s_mul_i32 s42, s41, s43
	s_add_co_ci_u32 s43, s27, 0
	s_delay_alu instid0(SALU_CYCLE_1) | instskip(NEXT) | instid1(SALU_CYCLE_1)
	s_add_nc_u64 s[42:43], s[44:45], s[42:43]
	s_add_co_u32 s2, s40, s42
	s_cselect_b32 s11, -1, 0
	v_mul_hi_u32 v26, v0, s2
	s_cmp_lg_u32 s11, 0
	s_add_co_ci_u32 s44, s41, s43
	s_and_b64 s[40:41], s[2:3], s[18:19]
	v_mul_u64_e32 v[16:17], s[44:45], v[0:1]
	v_mul_u64_e32 v[14:15], s[40:41], v[22:23]
	;; [unrolled: 1-line block ×3, first 2 shown]
	s_delay_alu instid0(VALU_DEP_3) | instskip(NEXT) | instid1(VALU_DEP_1)
	v_add_nc_u64_e32 v[16:17], v[26:27], v[16:17]
	v_add_co_u32 v11, vcc_lo, v16, v14
	s_delay_alu instid0(VALU_DEP_2) | instskip(NEXT) | instid1(VALU_DEP_4)
	v_add_co_ci_u32_e32 v26, vcc_lo, v17, v15, vcc_lo
	v_add_co_ci_u32_e32 v25, vcc_lo, 0, v25, vcc_lo
	s_delay_alu instid0(VALU_DEP_1) | instskip(NEXT) | instid1(VALU_DEP_1)
	v_add_nc_u64_e32 v[14:15], v[26:27], v[24:25]
	v_mul_u64_e32 v[16:17], s[28:29], v[14:15]
	s_delay_alu instid0(VALU_DEP_1) | instskip(NEXT) | instid1(VALU_DEP_2)
	v_sub_nc_u32_e32 v11, v22, v17
	v_sub_co_u32 v0, vcc_lo, v0, v16
	s_delay_alu instid0(VALU_DEP_1) | instskip(NEXT) | instid1(VALU_DEP_3)
	v_sub_co_ci_u32_e64 v24, null, v22, v17, vcc_lo
	v_subrev_co_ci_u32_e64 v11, null, s29, v11, vcc_lo
	s_delay_alu instid0(VALU_DEP_3) | instskip(SKIP_1) | instid1(VALU_DEP_3)
	v_sub_co_u32 v13, s2, v0, s28
	v_add_nc_u64_e32 v[22:23], 1, v[14:15]
	v_subrev_co_ci_u32_e64 v11, null, 0, v11, s2
	s_delay_alu instid0(VALU_DEP_3) | instskip(SKIP_1) | instid1(VALU_DEP_3)
	v_cmp_le_u32_e32 vcc_lo, s28, v13
	v_cndmask_b32_e64 v13, 0, -1, vcc_lo
	v_cmp_le_u32_e32 vcc_lo, s29, v11
	v_cndmask_b32_e64 v16, 0, -1, vcc_lo
	;; [unrolled: 2-line block ×4, first 2 shown]
	v_cmp_eq_u32_e32 vcc_lo, s29, v11
	v_cndmask_b32_e32 v11, v16, v13, vcc_lo
	v_cmp_eq_u32_e32 vcc_lo, s29, v24
	v_add_nc_u64_e32 v[16:17], 2, v[14:15]
	v_cndmask_b32_e32 v0, v25, v0, vcc_lo
	s_delay_alu instid0(VALU_DEP_4) | instskip(NEXT) | instid1(VALU_DEP_2)
	v_cmp_ne_u32_e32 vcc_lo, 0, v11
	v_cmp_ne_u32_e64 s2, 0, v0
	s_delay_alu instid0(VALU_DEP_4) | instskip(NEXT) | instid1(VALU_DEP_1)
	v_dual_cndmask_b32 v11, v23, v17 :: v_dual_cndmask_b32 v0, v22, v16
	v_dual_cndmask_b32 v11, v15, v11, s2 :: v_dual_cndmask_b32 v0, v14, v0, s2
	s_delay_alu instid0(VALU_DEP_1) | instskip(NEXT) | instid1(VALU_DEP_2)
	v_dual_mov_b32 v13, v12 :: v_dual_bitop2_b32 v15, v11, v12 bitop3:0x14
	v_xor_b32_e32 v14, v0, v12
	s_delay_alu instid0(VALU_DEP_1)
	v_sub_nc_u64_e32 v[12:13], v[14:15], v[12:13]
                                        ; implicit-def: $vgpr14_vgpr15
.LBB7_33:                               ;   in Loop: Header=BB7_27 Depth=2
	s_and_not1_saveexec_b32 s2, s3
	s_cbranch_execz .LBB7_35
; %bb.34:                               ;   in Loop: Header=BB7_27 Depth=2
	v_cvt_f32_u32_e32 v0, s14
	s_sub_co_i32 s3, 0, s14
	s_delay_alu instid0(VALU_DEP_1) | instskip(SKIP_1) | instid1(TRANS32_DEP_1)
	v_rcp_iflag_f32_e32 v0, v0
	v_nop
	v_mul_f32_e32 v0, 0x4f7ffffe, v0
	s_delay_alu instid0(VALU_DEP_1) | instskip(NEXT) | instid1(VALU_DEP_1)
	v_cvt_u32_f32_e32 v0, v0
	v_mul_lo_u32 v11, s3, v0
	s_delay_alu instid0(VALU_DEP_1) | instskip(NEXT) | instid1(VALU_DEP_1)
	v_mul_hi_u32 v11, v0, v11
	v_add_nc_u32_e32 v0, v0, v11
	s_delay_alu instid0(VALU_DEP_1) | instskip(NEXT) | instid1(VALU_DEP_1)
	v_mul_hi_u32 v0, v14, v0
	v_mul_lo_u32 v11, v0, s14
	s_delay_alu instid0(VALU_DEP_1) | instskip(NEXT) | instid1(VALU_DEP_1)
	v_dual_add_nc_u32 v12, 1, v0 :: v_dual_sub_nc_u32 v11, v14, v11
	v_subrev_nc_u32_e32 v13, s14, v11
	v_cmp_le_u32_e32 vcc_lo, s14, v11
	s_delay_alu instid0(VALU_DEP_2) | instskip(NEXT) | instid1(VALU_DEP_1)
	v_dual_cndmask_b32 v11, v11, v13 :: v_dual_cndmask_b32 v0, v0, v12
	v_cmp_le_u32_e32 vcc_lo, s14, v11
	s_delay_alu instid0(VALU_DEP_2) | instskip(NEXT) | instid1(VALU_DEP_1)
	v_add_nc_u32_e32 v12, 1, v0
	v_cndmask_b32_e32 v0, v0, v12, vcc_lo
	s_delay_alu instid0(VALU_DEP_1)
	v_mov_b64_e32 v[12:13], v[0:1]
.LBB7_35:                               ;   in Loop: Header=BB7_27 Depth=2
	s_or_b32 exec_lo, exec_lo, s2
	v_dual_add_nc_u32 v0, 1, v8 :: v_dual_mov_b32 v16, v1
	s_delay_alu instid0(VALU_DEP_1) | instskip(NEXT) | instid1(VALU_DEP_1)
	v_mad_nc_u64_u32 v[14:15], v0, s6, -1
	v_mad_u32 v15, v0, s7, v15
	s_delay_alu instid0(VALU_DEP_1) | instskip(NEXT) | instid1(VALU_DEP_1)
	v_or_b32_e32 v17, s15, v15
	v_cmp_ne_u64_e32 vcc_lo, 0, v[16:17]
                                        ; implicit-def: $vgpr16_vgpr17
	s_and_saveexec_b32 s2, vcc_lo
	s_delay_alu instid0(SALU_CYCLE_1)
	s_xor_b32 s3, exec_lo, s2
	s_cbranch_execnz .LBB7_38
; %bb.36:                               ;   in Loop: Header=BB7_27 Depth=2
	s_and_not1_saveexec_b32 s2, s3
	s_cbranch_execnz .LBB7_39
.LBB7_37:                               ;   in Loop: Header=BB7_27 Depth=2
	s_or_b32 exec_lo, exec_lo, s2
	s_delay_alu instid0(SALU_CYCLE_1)
	s_and_not1_b32 vcc_lo, exec_lo, s34
	s_cbranch_vccz .LBB7_40
	s_branch .LBB7_26
.LBB7_38:                               ;   in Loop: Header=BB7_27 Depth=2
	s_ashr_i32 s26, s15, 31
	s_mov_b32 s45, s10
	s_mov_b32 s27, s26
	;; [unrolled: 1-line block ×3, first 2 shown]
	s_add_nc_u64 s[28:29], s[14:15], s[26:27]
	v_dual_mov_b32 v25, v1 :: v_dual_ashrrev_i32 v16, 31, v15
	s_xor_b64 s[28:29], s[28:29], s[26:27]
	v_mov_b32_e32 v29, v1
	s_cvt_f32_u32 s2, s28
	s_cvt_f32_u32 s11, s29
	s_sub_nc_u64 s[42:43], 0, s[28:29]
	v_mov_b32_e32 v17, v16
	s_delay_alu instid0(SALU_CYCLE_1) | instskip(NEXT) | instid1(VALU_DEP_1)
	s_fmamk_f32 s2, s11, 0x4f800000, s2
	v_add_nc_u64_e32 v[14:15], v[14:15], v[16:17]
	s_delay_alu instid0(SALU_CYCLE_2) | instskip(NEXT) | instid1(VALU_DEP_1)
	v_s_rcp_f32 s2, s2
	v_xor_b32_e32 v0, v14, v16
	s_delay_alu instid0(VALU_DEP_2) | instskip(NEXT) | instid1(TRANS32_DEP_1)
	v_xor_b32_e32 v24, v15, v16
	s_mul_f32 s2, s2, 0x5f7ffffc
	v_xor_b32_e32 v16, s26, v16
	s_delay_alu instid0(SALU_CYCLE_2) | instskip(NEXT) | instid1(SALU_CYCLE_3)
	s_mul_f32 s11, s2, 0x2f800000
	s_trunc_f32 s11, s11
	s_delay_alu instid0(SALU_CYCLE_3) | instskip(SKIP_1) | instid1(SALU_CYCLE_2)
	s_fmamk_f32 s2, s11, 0xcf800000, s2
	s_cvt_u32_f32 s41, s11
	s_cvt_u32_f32 s40, s2
	s_delay_alu instid0(SALU_CYCLE_3) | instskip(NEXT) | instid1(SALU_CYCLE_1)
	s_mul_u64 s[46:47], s[42:43], s[40:41]
	s_mul_hi_u32 s51, s40, s47
	s_mul_i32 s50, s40, s47
	s_mul_hi_u32 s44, s40, s46
	s_mul_i32 s11, s41, s46
	s_add_nc_u64 s[44:45], s[44:45], s[50:51]
	s_mul_hi_u32 s2, s41, s46
	s_mul_hi_u32 s27, s41, s47
	s_add_co_u32 s11, s44, s11
	s_add_co_ci_u32 s48, s45, s2
	s_mul_i32 s46, s41, s47
	s_add_co_ci_u32 s47, s27, 0
	s_delay_alu instid0(SALU_CYCLE_1) | instskip(SKIP_3) | instid1(SALU_CYCLE_1)
	s_add_nc_u64 s[44:45], s[48:49], s[46:47]
	s_mov_b32 s47, s10
	s_add_co_u32 s40, s40, s44
	s_cselect_b32 s2, -1, 0
	s_cmp_lg_u32 s2, 0
	s_add_co_ci_u32 s41, s41, s45
	s_mov_b32 s45, s10
	s_mul_u64 s[42:43], s[42:43], s[40:41]
	s_delay_alu instid0(SALU_CYCLE_1)
	s_mul_hi_u32 s49, s40, s43
	s_mul_i32 s48, s40, s43
	s_mul_hi_u32 s46, s40, s42
	s_mul_i32 s11, s41, s42
	s_add_nc_u64 s[46:47], s[46:47], s[48:49]
	s_mul_hi_u32 s2, s41, s42
	s_mul_hi_u32 s27, s41, s43
	s_add_co_u32 s11, s46, s11
	s_add_co_ci_u32 s44, s47, s2
	s_mul_i32 s42, s41, s43
	s_add_co_ci_u32 s43, s27, 0
	s_delay_alu instid0(SALU_CYCLE_1) | instskip(NEXT) | instid1(SALU_CYCLE_1)
	s_add_nc_u64 s[42:43], s[44:45], s[42:43]
	s_add_co_u32 s2, s40, s42
	s_cselect_b32 s11, -1, 0
	v_mul_hi_u32 v28, v0, s2
	s_cmp_lg_u32 s11, 0
	s_add_co_ci_u32 s44, s41, s43
	s_and_b64 s[40:41], s[2:3], s[18:19]
	v_mul_u64_e32 v[22:23], s[44:45], v[0:1]
	v_mul_u64_e32 v[14:15], s[40:41], v[24:25]
	;; [unrolled: 1-line block ×3, first 2 shown]
	s_delay_alu instid0(VALU_DEP_3) | instskip(NEXT) | instid1(VALU_DEP_1)
	v_add_nc_u64_e32 v[22:23], v[28:29], v[22:23]
	v_add_co_u32 v11, vcc_lo, v22, v14
	s_delay_alu instid0(VALU_DEP_2) | instskip(NEXT) | instid1(VALU_DEP_4)
	v_add_co_ci_u32_e32 v28, vcc_lo, v23, v15, vcc_lo
	v_add_co_ci_u32_e32 v27, vcc_lo, 0, v27, vcc_lo
	s_delay_alu instid0(VALU_DEP_1) | instskip(NEXT) | instid1(VALU_DEP_1)
	v_add_nc_u64_e32 v[14:15], v[28:29], v[26:27]
	v_mul_u64_e32 v[22:23], s[28:29], v[14:15]
	s_delay_alu instid0(VALU_DEP_1) | instskip(NEXT) | instid1(VALU_DEP_2)
	v_sub_nc_u32_e32 v11, v24, v23
	v_sub_co_u32 v0, vcc_lo, v0, v22
	s_delay_alu instid0(VALU_DEP_1) | instskip(NEXT) | instid1(VALU_DEP_3)
	v_sub_co_ci_u32_e64 v26, null, v24, v23, vcc_lo
	v_subrev_co_ci_u32_e64 v11, null, s29, v11, vcc_lo
	s_delay_alu instid0(VALU_DEP_3) | instskip(SKIP_1) | instid1(VALU_DEP_3)
	v_sub_co_u32 v17, s2, v0, s28
	v_add_nc_u64_e32 v[24:25], 1, v[14:15]
	v_subrev_co_ci_u32_e64 v11, null, 0, v11, s2
	s_delay_alu instid0(VALU_DEP_3) | instskip(SKIP_1) | instid1(VALU_DEP_3)
	v_cmp_le_u32_e32 vcc_lo, s28, v17
	v_cndmask_b32_e64 v17, 0, -1, vcc_lo
	v_cmp_le_u32_e32 vcc_lo, s29, v11
	v_cndmask_b32_e64 v22, 0, -1, vcc_lo
	;; [unrolled: 2-line block ×4, first 2 shown]
	v_cmp_eq_u32_e32 vcc_lo, s29, v11
	v_cndmask_b32_e32 v11, v22, v17, vcc_lo
	v_cmp_eq_u32_e32 vcc_lo, s29, v26
	v_add_nc_u64_e32 v[22:23], 2, v[14:15]
	v_cndmask_b32_e32 v0, v27, v0, vcc_lo
	s_delay_alu instid0(VALU_DEP_4) | instskip(NEXT) | instid1(VALU_DEP_2)
	v_cmp_ne_u32_e32 vcc_lo, 0, v11
	v_cmp_ne_u32_e64 s2, 0, v0
	s_delay_alu instid0(VALU_DEP_4) | instskip(NEXT) | instid1(VALU_DEP_1)
	v_dual_cndmask_b32 v11, v25, v23 :: v_dual_cndmask_b32 v0, v24, v22
	v_dual_cndmask_b32 v11, v15, v11, s2 :: v_dual_cndmask_b32 v0, v14, v0, s2
	s_delay_alu instid0(VALU_DEP_1) | instskip(NEXT) | instid1(VALU_DEP_2)
	v_dual_mov_b32 v17, v16 :: v_dual_bitop2_b32 v15, v11, v16 bitop3:0x14
	v_xor_b32_e32 v14, v0, v16
	s_delay_alu instid0(VALU_DEP_1)
	v_sub_nc_u64_e32 v[16:17], v[14:15], v[16:17]
                                        ; implicit-def: $vgpr14_vgpr15
	s_and_not1_saveexec_b32 s2, s3
	s_cbranch_execz .LBB7_37
.LBB7_39:                               ;   in Loop: Header=BB7_27 Depth=2
	v_cvt_f32_u32_e32 v0, s14
	s_sub_co_i32 s3, 0, s14
	s_delay_alu instid0(VALU_DEP_1) | instskip(SKIP_1) | instid1(TRANS32_DEP_1)
	v_rcp_iflag_f32_e32 v0, v0
	v_nop
	v_mul_f32_e32 v0, 0x4f7ffffe, v0
	s_delay_alu instid0(VALU_DEP_1) | instskip(NEXT) | instid1(VALU_DEP_1)
	v_cvt_u32_f32_e32 v0, v0
	v_mul_lo_u32 v11, s3, v0
	s_delay_alu instid0(VALU_DEP_1) | instskip(NEXT) | instid1(VALU_DEP_1)
	v_mul_hi_u32 v11, v0, v11
	v_add_nc_u32_e32 v0, v0, v11
	s_delay_alu instid0(VALU_DEP_1) | instskip(NEXT) | instid1(VALU_DEP_1)
	v_mul_hi_u32 v0, v14, v0
	v_mul_lo_u32 v11, v0, s14
	s_delay_alu instid0(VALU_DEP_1) | instskip(NEXT) | instid1(VALU_DEP_1)
	v_sub_nc_u32_e32 v11, v14, v11
	v_subrev_nc_u32_e32 v15, s14, v11
	v_cmp_le_u32_e32 vcc_lo, s14, v11
	s_delay_alu instid0(VALU_DEP_2) | instskip(NEXT) | instid1(VALU_DEP_1)
	v_dual_cndmask_b32 v11, v11, v15 :: v_dual_add_nc_u32 v14, 1, v0
	v_cndmask_b32_e32 v0, v0, v14, vcc_lo
	s_delay_alu instid0(VALU_DEP_2) | instskip(NEXT) | instid1(VALU_DEP_2)
	v_cmp_le_u32_e32 vcc_lo, s14, v11
	v_add_nc_u32_e32 v14, 1, v0
	s_delay_alu instid0(VALU_DEP_1) | instskip(SKIP_1) | instid1(SALU_CYCLE_1)
	v_cndmask_b32_e32 v16, v0, v14, vcc_lo
	s_or_b32 exec_lo, exec_lo, s2
	s_and_not1_b32 vcc_lo, exec_lo, s34
	s_cbranch_vccnz .LBB7_26
.LBB7_40:                               ;   in Loop: Header=BB7_27 Depth=2
	v_lshl_add_u64 v[14:15], v[8:9], 1, v[4:5]
	s_mov_b32 s11, 0
	global_load_u16 v0, v[14:15], off
	s_wait_loadcnt 0x0
	v_lshlrev_b32_e32 v0, 16, v0
	s_delay_alu instid0(VALU_DEP_1) | instskip(NEXT) | instid1(VALU_DEP_1)
	v_div_scale_f32 v9, null, s33, s33, v0
	v_rcp_f32_e32 v11, v9
	v_nop
	s_delay_alu instid0(TRANS32_DEP_1) | instskip(NEXT) | instid1(VALU_DEP_1)
	v_fma_f32 v14, -v9, v11, 1.0
	v_fmac_f32_e32 v11, v14, v11
	v_div_scale_f32 v15, vcc_lo, v0, s33, v0
	s_delay_alu instid0(VALU_DEP_1) | instskip(NEXT) | instid1(VALU_DEP_1)
	v_mul_f32_e32 v14, v15, v11
	v_fma_f32 v17, -v9, v14, v15
	s_delay_alu instid0(VALU_DEP_1) | instskip(NEXT) | instid1(VALU_DEP_1)
	v_fmac_f32_e32 v14, v17, v11
	v_fma_f32 v9, -v9, v14, v15
	s_delay_alu instid0(VALU_DEP_1) | instskip(NEXT) | instid1(VALU_DEP_1)
	v_div_fmas_f32 v9, v9, v11, v14
	v_div_fixup_f32 v0, v9, s33, v0
	s_delay_alu instid0(VALU_DEP_1) | instskip(SKIP_1) | instid1(VALU_DEP_2)
	v_bfe_u32 v9, v0, 16, 1
	v_cmp_o_f32_e32 vcc_lo, v0, v0
	v_add3_u32 v9, v0, v9, 0x7fff
	s_delay_alu instid0(VALU_DEP_1) | instskip(NEXT) | instid1(VALU_DEP_1)
	v_and_b32_e32 v9, 0xffff0000, v9
	v_cndmask_b32_e32 v0, 0x7fc00000, v9, vcc_lo
	s_delay_alu instid0(VALU_DEP_1) | instskip(SKIP_1) | instid1(VALU_DEP_2)
	v_div_scale_f32 v9, null, v21, v21, v0
	v_div_scale_f32 v15, vcc_lo, v0, v21, v0
	v_rcp_f32_e32 v14, v9
	v_nop
	s_delay_alu instid0(TRANS32_DEP_1) | instskip(NEXT) | instid1(VALU_DEP_1)
	v_fma_f32 v11, -v9, v14, 1.0
	v_fmac_f32_e32 v14, v11, v14
	v_mad_nc_u64_u32 v[10:11], v10, s6, v[12:13]
	s_delay_alu instid0(VALU_DEP_2) | instskip(NEXT) | instid1(VALU_DEP_1)
	v_mul_f32_e32 v17, v15, v14
	v_dual_fma_f32 v22, -v9, v17, v15 :: v_dual_sub_nc_u32 v11, v16, v10
	s_delay_alu instid0(VALU_DEP_1) | instskip(NEXT) | instid1(VALU_DEP_1)
	v_fmac_f32_e32 v17, v22, v14
	v_fma_f32 v9, -v9, v17, v15
	s_delay_alu instid0(VALU_DEP_1) | instskip(NEXT) | instid1(VALU_DEP_4)
	v_div_fmas_f32 v12, v9, v14, v17
	v_add_nc_u32_e32 v9, 1, v11
	s_delay_alu instid0(VALU_DEP_2) | instskip(NEXT) | instid1(VALU_DEP_2)
	v_div_fixup_f32 v0, v12, v21, v0
	v_cvt_f32_i32_e32 v11, v9
	s_delay_alu instid0(VALU_DEP_2) | instskip(NEXT) | instid1(VALU_DEP_2)
	v_bfe_u32 v12, v0, 16, 1
	v_bfe_u32 v13, v11, 16, 1
	v_cmp_o_f32_e32 vcc_lo, v0, v0
	s_delay_alu instid0(VALU_DEP_3) | instskip(NEXT) | instid1(VALU_DEP_3)
	v_add3_u32 v12, v0, v12, 0x7fff
	v_add3_u32 v11, v11, v13, 0x7fff
	s_delay_alu instid0(VALU_DEP_2) | instskip(NEXT) | instid1(VALU_DEP_2)
	v_and_b32_e32 v12, 0xffff0000, v12
	v_and_b32_e32 v11, 0xffff0000, v11
	s_delay_alu instid0(VALU_DEP_2) | instskip(NEXT) | instid1(VALU_DEP_1)
	v_cndmask_b32_e32 v0, 0x7fc00000, v12, vcc_lo
	v_div_scale_f32 v12, null, v11, v11, v0
	s_delay_alu instid0(VALU_DEP_1) | instskip(SKIP_1) | instid1(TRANS32_DEP_1)
	v_rcp_f32_e32 v13, v12
	v_nop
	v_fma_f32 v14, -v12, v13, 1.0
	s_delay_alu instid0(VALU_DEP_1) | instskip(SKIP_1) | instid1(VALU_DEP_1)
	v_fmac_f32_e32 v13, v14, v13
	v_div_scale_f32 v15, vcc_lo, v0, v11, v0
	v_mul_f32_e32 v14, v15, v13
	s_delay_alu instid0(VALU_DEP_1) | instskip(NEXT) | instid1(VALU_DEP_1)
	v_fma_f32 v16, -v12, v14, v15
	v_fmac_f32_e32 v14, v16, v13
	s_delay_alu instid0(VALU_DEP_1) | instskip(NEXT) | instid1(VALU_DEP_1)
	v_fma_f32 v12, -v12, v14, v15
	v_div_fmas_f32 v12, v12, v13, v14
	v_mov_b32_e32 v13, v10
	v_cmp_lt_i32_e32 vcc_lo, 0, v9
	s_delay_alu instid0(VALU_DEP_3) | instskip(SKIP_1) | instid1(VALU_DEP_2)
	v_div_fixup_f32 v0, v12, v11, v0
	v_mov_b32_e32 v12, v1
	v_bfe_u32 v11, v0, 16, 1
	v_cmp_o_f32_e64 s2, v0, v0
	s_delay_alu instid0(VALU_DEP_2) | instskip(NEXT) | instid1(VALU_DEP_4)
	v_add3_u32 v14, v0, v11, 0x7fff
	v_ashrrev_i64 v[10:11], 31, v[12:13]
	s_delay_alu instid0(VALU_DEP_2) | instskip(NEXT) | instid1(VALU_DEP_2)
	v_and_b32_e32 v12, 0xffff0000, v14
	v_add_nc_u64_e32 v[10:11], v[6:7], v[10:11]
	s_delay_alu instid0(VALU_DEP_2)
	v_cndmask_b32_e64 v16, 0x7fc00000, v12, s2
	s_branch .LBB7_42
.LBB7_41:                               ;   in Loop: Header=BB7_42 Depth=3
	s_or_b32 exec_lo, exec_lo, s26
	s_delay_alu instid0(VALU_DEP_1) | instskip(SKIP_1) | instid1(SALU_CYCLE_1)
	v_lshl_add_u64 v[10:11], s[4:5], 1, v[10:11]
	s_add_co_i32 s11, s11, 1
	s_cmp_lt_i32 s11, s30
	s_cbranch_scc0 .LBB7_26
.LBB7_42:                               ;   Parent Loop BB7_12 Depth=1
                                        ;     Parent Loop BB7_27 Depth=2
                                        ; =>    This Loop Header: Depth=3
                                        ;         Child Loop BB7_45 Depth 4
                                        ;           Child Loop BB7_47 Depth 5
                                        ;             Child Loop BB7_48 Depth 6
	s_and_saveexec_b32 s26, s1
	s_cbranch_execz .LBB7_41
; %bb.43:                               ;   in Loop: Header=BB7_42 Depth=3
	s_mov_b32 s27, 0
	s_mov_b32 s28, 0
	s_branch .LBB7_45
.LBB7_44:                               ;   in Loop: Header=BB7_45 Depth=4
	s_or_b32 exec_lo, exec_lo, s29
	s_add_co_i32 s28, s28, 1
	s_delay_alu instid0(SALU_CYCLE_1) | instskip(SKIP_1) | instid1(SALU_CYCLE_1)
	v_cmp_ge_i32_e64 s2, s28, v3
	s_or_b32 s27, s2, s27
	s_and_not1_b32 exec_lo, exec_lo, s27
	s_cbranch_execz .LBB7_41
.LBB7_45:                               ;   Parent Loop BB7_12 Depth=1
                                        ;     Parent Loop BB7_27 Depth=2
                                        ;       Parent Loop BB7_42 Depth=3
                                        ; =>      This Loop Header: Depth=4
                                        ;           Child Loop BB7_47 Depth 5
                                        ;             Child Loop BB7_48 Depth 6
	s_and_saveexec_b32 s29, vcc_lo
	s_cbranch_execz .LBB7_44
; %bb.46:                               ;   in Loop: Header=BB7_45 Depth=4
	s_mul_i32 s40, s28, s6
	s_mov_b32 s41, 0
	s_mov_b32 s42, 0
.LBB7_47:                               ;   Parent Loop BB7_12 Depth=1
                                        ;     Parent Loop BB7_27 Depth=2
                                        ;       Parent Loop BB7_42 Depth=3
                                        ;         Parent Loop BB7_45 Depth=4
                                        ; =>        This Loop Header: Depth=5
                                        ;             Child Loop BB7_48 Depth 6
	s_delay_alu instid0(SALU_CYCLE_1) | instskip(SKIP_2) | instid1(SALU_CYCLE_1)
	s_add_co_i32 s2, s42, s40
	s_mov_b32 s43, 0
	s_ashr_i32 s3, s2, 31
	v_lshl_add_u64 v[12:13], s[2:3], 1, v[10:11]
	s_delay_alu instid0(VALU_DEP_1) | instskip(NEXT) | instid1(VALU_DEP_1)
	v_and_b32_e32 v0, 2, v12
	v_sub_nc_u64_e32 v[14:15], 0, v[0:1]
	v_cmp_eq_u64_e64 s2, 0, v[0:1]
	s_delay_alu instid0(VALU_DEP_2)
	v_add_nc_u64_e32 v[12:13], v[12:13], v[14:15]
	global_load_b32 v15, v[12:13], off
.LBB7_48:                               ;   Parent Loop BB7_12 Depth=1
                                        ;     Parent Loop BB7_27 Depth=2
                                        ;       Parent Loop BB7_42 Depth=3
                                        ;         Parent Loop BB7_45 Depth=4
                                        ;           Parent Loop BB7_47 Depth=5
                                        ; =>          This Inner Loop Header: Depth=6
	s_wait_loadcnt 0x0
	v_lshrrev_b32_e32 v0, 16, v15
	v_and_b32_e32 v14, 0xffff, v15
	s_delay_alu instid0(VALU_DEP_1) | instskip(NEXT) | instid1(VALU_DEP_1)
	v_cndmask_b32_e64 v0, v0, v14, s2
	v_lshlrev_b32_e32 v0, 16, v0
	s_delay_alu instid0(VALU_DEP_1) | instskip(NEXT) | instid1(VALU_DEP_1)
	v_add_f32_e32 v0, v16, v0
	v_bfe_u32 v17, v0, 16, 1
	v_cmp_o_f32_e64 s3, v0, v0
	s_delay_alu instid0(VALU_DEP_2) | instskip(NEXT) | instid1(VALU_DEP_1)
	v_add3_u32 v17, v0, v17, 0x7fff
	v_lshrrev_b32_e32 v17, 16, v17
	s_delay_alu instid0(VALU_DEP_1) | instskip(NEXT) | instid1(VALU_DEP_1)
	v_cndmask_b32_e64 v0, 0x7fc0, v17, s3
	v_lshl_or_b32 v14, v0, 16, v14
	v_and_or_b32 v0, 0xffff0000, v15, v0
	s_delay_alu instid0(VALU_DEP_1)
	v_cndmask_b32_e64 v14, v14, v0, s2
	global_atomic_cmpswap_b32 v0, v[12:13], v[14:15], off th:TH_ATOMIC_RETURN scope:SCOPE_DEV
	s_wait_loadcnt 0x0
	v_cmp_eq_u32_e64 s3, v15, v0
	v_mov_b32_e32 v15, v0
	s_or_b32 s43, s3, s43
	s_delay_alu instid0(SALU_CYCLE_1)
	s_and_not1_b32 exec_lo, exec_lo, s43
	s_cbranch_execnz .LBB7_48
; %bb.49:                               ;   in Loop: Header=BB7_47 Depth=5
	s_or_b32 exec_lo, exec_lo, s43
	s_add_co_i32 s42, s42, 1
	s_delay_alu instid0(SALU_CYCLE_1) | instskip(SKIP_1) | instid1(SALU_CYCLE_1)
	v_cmp_ge_i32_e64 s2, s42, v9
	s_or_b32 s41, s2, s41
	s_and_not1_b32 exec_lo, exec_lo, s41
	s_cbranch_execnz .LBB7_47
	s_branch .LBB7_44
.LBB7_50:
	s_endpgm
.LBB7_51:
                                        ; implicit-def: $sgpr12_sgpr13
	s_branch .LBB7_2
.LBB7_52:
                                        ; implicit-def: $sgpr16_sgpr17
	s_branch .LBB7_5
.LBB7_53:
                                        ; implicit-def: $sgpr20_sgpr21
	s_load_b32 s17, s[0:1], 0x3c
	s_branch .LBB7_8
	.section	.rodata,"a",@progbits
	.p2align	6, 0x0
	.amdhsa_kernel _ZN2at6native12_GLOBAL__N_130atomicadaptiveaveragegradinputIN3c108BFloat16EEEvPT_PKS5_iiiiiil
		.amdhsa_group_segment_fixed_size 0
		.amdhsa_private_segment_fixed_size 0
		.amdhsa_kernarg_size 304
		.amdhsa_user_sgpr_count 2
		.amdhsa_user_sgpr_dispatch_ptr 0
		.amdhsa_user_sgpr_queue_ptr 0
		.amdhsa_user_sgpr_kernarg_segment_ptr 1
		.amdhsa_user_sgpr_dispatch_id 0
		.amdhsa_user_sgpr_kernarg_preload_length 0
		.amdhsa_user_sgpr_kernarg_preload_offset 0
		.amdhsa_user_sgpr_private_segment_size 0
		.amdhsa_wavefront_size32 1
		.amdhsa_uses_dynamic_stack 0
		.amdhsa_enable_private_segment 0
		.amdhsa_system_sgpr_workgroup_id_x 1
		.amdhsa_system_sgpr_workgroup_id_y 1
		.amdhsa_system_sgpr_workgroup_id_z 0
		.amdhsa_system_sgpr_workgroup_info 0
		.amdhsa_system_vgpr_workitem_id 1
		.amdhsa_next_free_vgpr 30
		.amdhsa_next_free_sgpr 52
		.amdhsa_named_barrier_count 0
		.amdhsa_reserve_vcc 1
		.amdhsa_float_round_mode_32 0
		.amdhsa_float_round_mode_16_64 0
		.amdhsa_float_denorm_mode_32 3
		.amdhsa_float_denorm_mode_16_64 3
		.amdhsa_fp16_overflow 0
		.amdhsa_memory_ordered 1
		.amdhsa_forward_progress 1
		.amdhsa_inst_pref_size 62
		.amdhsa_round_robin_scheduling 0
		.amdhsa_exception_fp_ieee_invalid_op 0
		.amdhsa_exception_fp_denorm_src 0
		.amdhsa_exception_fp_ieee_div_zero 0
		.amdhsa_exception_fp_ieee_overflow 0
		.amdhsa_exception_fp_ieee_underflow 0
		.amdhsa_exception_fp_ieee_inexact 0
		.amdhsa_exception_int_div_zero 0
	.end_amdhsa_kernel
	.section	.text._ZN2at6native12_GLOBAL__N_130atomicadaptiveaveragegradinputIN3c108BFloat16EEEvPT_PKS5_iiiiiil,"axG",@progbits,_ZN2at6native12_GLOBAL__N_130atomicadaptiveaveragegradinputIN3c108BFloat16EEEvPT_PKS5_iiiiiil,comdat
.Lfunc_end7:
	.size	_ZN2at6native12_GLOBAL__N_130atomicadaptiveaveragegradinputIN3c108BFloat16EEEvPT_PKS5_iiiiiil, .Lfunc_end7-_ZN2at6native12_GLOBAL__N_130atomicadaptiveaveragegradinputIN3c108BFloat16EEEvPT_PKS5_iiiiiil
                                        ; -- End function
	.set _ZN2at6native12_GLOBAL__N_130atomicadaptiveaveragegradinputIN3c108BFloat16EEEvPT_PKS5_iiiiiil.num_vgpr, 30
	.set _ZN2at6native12_GLOBAL__N_130atomicadaptiveaveragegradinputIN3c108BFloat16EEEvPT_PKS5_iiiiiil.num_agpr, 0
	.set _ZN2at6native12_GLOBAL__N_130atomicadaptiveaveragegradinputIN3c108BFloat16EEEvPT_PKS5_iiiiiil.numbered_sgpr, 52
	.set _ZN2at6native12_GLOBAL__N_130atomicadaptiveaveragegradinputIN3c108BFloat16EEEvPT_PKS5_iiiiiil.num_named_barrier, 0
	.set _ZN2at6native12_GLOBAL__N_130atomicadaptiveaveragegradinputIN3c108BFloat16EEEvPT_PKS5_iiiiiil.private_seg_size, 0
	.set _ZN2at6native12_GLOBAL__N_130atomicadaptiveaveragegradinputIN3c108BFloat16EEEvPT_PKS5_iiiiiil.uses_vcc, 1
	.set _ZN2at6native12_GLOBAL__N_130atomicadaptiveaveragegradinputIN3c108BFloat16EEEvPT_PKS5_iiiiiil.uses_flat_scratch, 0
	.set _ZN2at6native12_GLOBAL__N_130atomicadaptiveaveragegradinputIN3c108BFloat16EEEvPT_PKS5_iiiiiil.has_dyn_sized_stack, 0
	.set _ZN2at6native12_GLOBAL__N_130atomicadaptiveaveragegradinputIN3c108BFloat16EEEvPT_PKS5_iiiiiil.has_recursion, 0
	.set _ZN2at6native12_GLOBAL__N_130atomicadaptiveaveragegradinputIN3c108BFloat16EEEvPT_PKS5_iiiiiil.has_indirect_call, 0
	.section	.AMDGPU.csdata,"",@progbits
; Kernel info:
; codeLenInByte = 7820
; TotalNumSgprs: 54
; NumVgprs: 30
; ScratchSize: 0
; MemoryBound: 0
; FloatMode: 240
; IeeeMode: 1
; LDSByteSize: 0 bytes/workgroup (compile time only)
; SGPRBlocks: 0
; VGPRBlocks: 1
; NumSGPRsForWavesPerEU: 54
; NumVGPRsForWavesPerEU: 30
; NamedBarCnt: 0
; Occupancy: 16
; WaveLimiterHint : 0
; COMPUTE_PGM_RSRC2:SCRATCH_EN: 0
; COMPUTE_PGM_RSRC2:USER_SGPR: 2
; COMPUTE_PGM_RSRC2:TRAP_HANDLER: 0
; COMPUTE_PGM_RSRC2:TGID_X_EN: 1
; COMPUTE_PGM_RSRC2:TGID_Y_EN: 1
; COMPUTE_PGM_RSRC2:TGID_Z_EN: 0
; COMPUTE_PGM_RSRC2:TIDIG_COMP_CNT: 1
	.section	.text._ZN2at6native12_GLOBAL__N_124adaptiveaveragegradinputIddEEvPT_PKS3_iiiiiil,"axG",@progbits,_ZN2at6native12_GLOBAL__N_124adaptiveaveragegradinputIddEEvPT_PKS3_iiiiiil,comdat
	.globl	_ZN2at6native12_GLOBAL__N_124adaptiveaveragegradinputIddEEvPT_PKS3_iiiiiil ; -- Begin function _ZN2at6native12_GLOBAL__N_124adaptiveaveragegradinputIddEEvPT_PKS3_iiiiiil
	.p2align	8
	.type	_ZN2at6native12_GLOBAL__N_124adaptiveaveragegradinputIddEEvPT_PKS3_iiiiiil,@function
_ZN2at6native12_GLOBAL__N_124adaptiveaveragegradinputIddEEvPT_PKS3_iiiiiil: ; @_ZN2at6native12_GLOBAL__N_124adaptiveaveragegradinputIddEEvPT_PKS3_iiiiiil
; %bb.0:
	s_load_b256 s[4:11], s[0:1], 0x10
	s_bfe_u32 s2, ttmp6, 0x4000c
	s_and_b32 s3, ttmp6, 15
	s_add_co_i32 s2, s2, 1
	s_getreg_b32 s26, hwreg(HW_REG_IB_STS2, 6, 4)
	s_mul_i32 s2, ttmp9, s2
	s_mov_b32 s13, 0
	s_add_co_i32 s3, s3, s2
	s_cmp_eq_u32 s26, 0
	s_cselect_b32 s12, ttmp9, s3
	s_wait_kmcnt 0x0
	s_add_nc_u64 s[2:3], s[10:11], s[12:13]
	s_ashr_i32 s11, s4, 31
	s_mov_b32 s10, s4
	s_delay_alu instid0(SALU_CYCLE_1) | instskip(NEXT) | instid1(SALU_CYCLE_1)
	s_or_b64 s[14:15], s[2:3], s[10:11]
	s_and_b64 s[14:15], s[14:15], 0xffffffff00000000
	s_delay_alu instid0(SALU_CYCLE_1)
	s_cmp_lg_u64 s[14:15], 0
	s_cbranch_scc0 .LBB8_85
; %bb.1:
	s_ashr_i32 s14, s11, 31
	s_delay_alu instid0(SALU_CYCLE_1) | instskip(NEXT) | instid1(SALU_CYCLE_1)
	s_mov_b32 s15, s14
	s_add_nc_u64 s[16:17], s[10:11], s[14:15]
	s_delay_alu instid0(SALU_CYCLE_1) | instskip(NEXT) | instid1(SALU_CYCLE_1)
	s_xor_b64 s[16:17], s[16:17], s[14:15]
	s_cvt_f32_u32 s4, s16
	s_cvt_f32_u32 s12, s17
	s_sub_nc_u64 s[20:21], 0, s[16:17]
	s_delay_alu instid0(SALU_CYCLE_2) | instskip(NEXT) | instid1(SALU_CYCLE_3)
	s_fmamk_f32 s4, s12, 0x4f800000, s4
	v_s_rcp_f32 s4, s4
	s_delay_alu instid0(TRANS32_DEP_1) | instskip(NEXT) | instid1(SALU_CYCLE_3)
	s_mul_f32 s4, s4, 0x5f7ffffc
	s_mul_f32 s12, s4, 0x2f800000
	s_delay_alu instid0(SALU_CYCLE_3) | instskip(NEXT) | instid1(SALU_CYCLE_3)
	s_trunc_f32 s12, s12
	s_fmamk_f32 s4, s12, 0xcf800000, s4
	s_cvt_u32_f32 s19, s12
	s_delay_alu instid0(SALU_CYCLE_2) | instskip(NEXT) | instid1(SALU_CYCLE_3)
	s_cvt_u32_f32 s18, s4
	s_mul_u64 s[22:23], s[20:21], s[18:19]
	s_delay_alu instid0(SALU_CYCLE_1)
	s_mul_hi_u32 s25, s18, s23
	s_mul_i32 s24, s18, s23
	s_mul_hi_u32 s12, s18, s22
	s_mul_i32 s27, s19, s22
	s_add_nc_u64 s[24:25], s[12:13], s[24:25]
	s_mul_hi_u32 s4, s19, s22
	s_mul_hi_u32 s28, s19, s23
	s_add_co_u32 s12, s24, s27
	s_add_co_ci_u32 s12, s25, s4
	s_mul_i32 s22, s19, s23
	s_add_co_ci_u32 s23, s28, 0
	s_delay_alu instid0(SALU_CYCLE_1) | instskip(NEXT) | instid1(SALU_CYCLE_1)
	s_add_nc_u64 s[22:23], s[12:13], s[22:23]
	s_add_co_u32 s18, s18, s22
	s_cselect_b32 s4, -1, 0
	s_delay_alu instid0(SALU_CYCLE_1) | instskip(SKIP_1) | instid1(SALU_CYCLE_1)
	s_cmp_lg_u32 s4, 0
	s_add_co_ci_u32 s19, s19, s23
	s_mul_u64 s[20:21], s[20:21], s[18:19]
	s_delay_alu instid0(SALU_CYCLE_1)
	s_mul_hi_u32 s23, s18, s21
	s_mul_i32 s22, s18, s21
	s_mul_hi_u32 s12, s18, s20
	s_mul_i32 s24, s19, s20
	s_add_nc_u64 s[22:23], s[12:13], s[22:23]
	s_mul_hi_u32 s4, s19, s20
	s_mul_hi_u32 s25, s19, s21
	s_add_co_u32 s12, s22, s24
	s_add_co_ci_u32 s12, s23, s4
	s_mul_i32 s20, s19, s21
	s_add_co_ci_u32 s21, s25, 0
	s_delay_alu instid0(SALU_CYCLE_1) | instskip(NEXT) | instid1(SALU_CYCLE_1)
	s_add_nc_u64 s[20:21], s[12:13], s[20:21]
	s_add_co_u32 s4, s18, s20
	s_cselect_b32 s12, -1, 0
	s_delay_alu instid0(SALU_CYCLE_1) | instskip(SKIP_2) | instid1(SALU_CYCLE_1)
	s_cmp_lg_u32 s12, 0
	s_add_co_ci_u32 s24, s19, s21
	s_ashr_i32 s18, s3, 31
	s_mov_b32 s19, s18
	s_delay_alu instid0(SALU_CYCLE_1) | instskip(NEXT) | instid1(SALU_CYCLE_1)
	s_add_nc_u64 s[20:21], s[2:3], s[18:19]
	s_xor_b64 s[20:21], s[20:21], s[18:19]
	s_delay_alu instid0(SALU_CYCLE_1)
	s_mul_hi_u32 s23, s20, s24
	s_mul_i32 s22, s20, s24
	s_mul_hi_u32 s12, s20, s4
	s_mul_hi_u32 s27, s21, s4
	s_mul_i32 s4, s21, s4
	s_add_nc_u64 s[22:23], s[12:13], s[22:23]
	s_mul_hi_u32 s25, s21, s24
	s_add_co_u32 s4, s22, s4
	s_add_co_ci_u32 s12, s23, s27
	s_mul_i32 s24, s21, s24
	s_add_co_ci_u32 s25, s25, 0
	s_delay_alu instid0(SALU_CYCLE_1) | instskip(NEXT) | instid1(SALU_CYCLE_1)
	s_add_nc_u64 s[22:23], s[12:13], s[24:25]
	s_and_b64 s[24:25], s[22:23], 0xffffffff00000000
	s_delay_alu instid0(SALU_CYCLE_1) | instskip(NEXT) | instid1(SALU_CYCLE_1)
	s_or_b32 s24, s24, s22
	s_mul_u64 s[22:23], s[16:17], s[24:25]
	s_add_nc_u64 s[28:29], s[24:25], 1
	s_sub_co_u32 s4, s20, s22
	s_cselect_b32 s12, -1, 0
	s_sub_co_i32 s20, s21, s23
	s_cmp_lg_u32 s12, 0
	s_add_nc_u64 s[30:31], s[24:25], 2
	s_sub_co_ci_u32 s20, s20, s17
	s_sub_co_u32 s22, s4, s16
	s_cselect_b32 s27, -1, 0
	s_delay_alu instid0(SALU_CYCLE_1) | instskip(SKIP_1) | instid1(SALU_CYCLE_1)
	s_cmp_lg_u32 s27, 0
	s_sub_co_ci_u32 s20, s20, 0
	s_cmp_ge_u32 s20, s17
	s_cselect_b32 s27, -1, 0
	s_cmp_ge_u32 s22, s16
	s_cselect_b32 s22, -1, 0
	s_cmp_eq_u32 s20, s17
	s_cselect_b32 s20, s22, s27
	s_delay_alu instid0(SALU_CYCLE_1) | instskip(SKIP_4) | instid1(SALU_CYCLE_1)
	s_cmp_lg_u32 s20, 0
	s_cselect_b32 s20, s30, s28
	s_cselect_b32 s22, s31, s29
	s_cmp_lg_u32 s12, 0
	s_sub_co_ci_u32 s12, s21, s23
	s_cmp_ge_u32 s12, s17
	s_cselect_b32 s21, -1, 0
	s_cmp_ge_u32 s4, s16
	s_cselect_b32 s4, -1, 0
	s_cmp_eq_u32 s12, s17
	s_cselect_b32 s4, s4, s21
	s_delay_alu instid0(SALU_CYCLE_1) | instskip(SKIP_3) | instid1(SALU_CYCLE_1)
	s_cmp_lg_u32 s4, 0
	s_cselect_b32 s17, s22, s25
	s_cselect_b32 s16, s20, s24
	s_xor_b64 s[14:15], s[18:19], s[14:15]
	s_xor_b64 s[16:17], s[16:17], s[14:15]
	s_delay_alu instid0(SALU_CYCLE_1)
	s_sub_nc_u64 s[14:15], s[16:17], s[14:15]
	v_cvt_f32_u32_e32 v1, s10
	s_and_not1_b32 vcc_lo, exec_lo, s13
	s_cbranch_vccnz .LBB8_3
.LBB8_2:
	s_delay_alu instid0(VALU_DEP_1) | instskip(SKIP_3) | instid1(TRANS32_DEP_1)
	v_rcp_iflag_f32_e32 v2, v1
	s_sub_co_i32 s12, 0, s10
	s_mov_b32 s15, 0
	v_nop
	v_mul_f32_e32 v2, 0x4f7ffffe, v2
	s_delay_alu instid0(VALU_DEP_1) | instskip(NEXT) | instid1(VALU_DEP_1)
	v_cvt_u32_f32_e32 v2, v2
	v_readfirstlane_b32 s4, v2
	s_mul_i32 s12, s12, s4
	s_delay_alu instid0(SALU_CYCLE_1) | instskip(NEXT) | instid1(SALU_CYCLE_1)
	s_mul_hi_u32 s12, s4, s12
	s_add_co_i32 s4, s4, s12
	s_delay_alu instid0(SALU_CYCLE_1) | instskip(NEXT) | instid1(SALU_CYCLE_1)
	s_mul_hi_u32 s4, s2, s4
	s_mul_i32 s12, s4, s10
	s_add_co_i32 s13, s4, 1
	s_sub_co_i32 s12, s2, s12
	s_delay_alu instid0(SALU_CYCLE_1)
	s_sub_co_i32 s14, s12, s10
	s_cmp_ge_u32 s12, s10
	s_cselect_b32 s4, s13, s4
	s_cselect_b32 s12, s14, s12
	s_add_co_i32 s13, s4, 1
	s_cmp_ge_u32 s12, s10
	s_cselect_b32 s14, s13, s4
.LBB8_3:
	s_abs_i32 s4, s10
	s_mov_b32 s23, 0
	s_cvt_f32_u32 s12, s4
	s_sub_co_i32 s16, 0, s4
	s_delay_alu instid0(SALU_CYCLE_2) | instskip(SKIP_1) | instid1(TRANS32_DEP_1)
	v_rcp_iflag_f32_e32 v2, s12
	v_nop
	v_readfirstlane_b32 s12, v2
	s_mul_f32 s12, s12, 0x4f7ffffe
	s_delay_alu instid0(SALU_CYCLE_3) | instskip(SKIP_1) | instid1(SALU_CYCLE_2)
	s_cvt_u32_f32 s18, s12
	s_mul_u64 s[12:13], s[14:15], s[10:11]
	s_mul_i32 s15, s16, s18
	s_sub_nc_u64 s[16:17], s[2:3], s[12:13]
	s_mul_hi_u32 s12, s18, s15
	s_abs_i32 s15, s16
	s_add_co_i32 s18, s18, s12
	s_ashr_i32 s13, s7, 31
	s_mul_hi_u32 s12, s15, s18
	s_xor_b32 s18, s16, s10
	s_mul_i32 s19, s12, s4
	s_ashr_i32 s18, s18, 31
	s_sub_co_i32 s15, s15, s19
	s_add_co_i32 s19, s12, 1
	s_sub_co_i32 s20, s15, s4
	s_cmp_ge_u32 s15, s4
	s_cselect_b32 s12, s19, s12
	s_cselect_b32 s15, s20, s15
	s_add_co_i32 s19, s12, 1
	s_cmp_ge_u32 s15, s4
	s_cselect_b32 s4, s19, s12
	s_delay_alu instid0(SALU_CYCLE_1) | instskip(NEXT) | instid1(SALU_CYCLE_1)
	s_xor_b32 s4, s4, s18
	s_sub_co_i32 s4, s4, s18
	s_delay_alu instid0(SALU_CYCLE_1) | instskip(NEXT) | instid1(SALU_CYCLE_1)
	s_mul_i32 s12, s4, s10
	s_sub_co_i32 s18, s16, s12
	s_mov_b32 s12, s7
	s_ashr_i32 s19, s18, 31
	s_delay_alu instid0(SALU_CYCLE_1) | instskip(NEXT) | instid1(SALU_CYCLE_1)
	s_mul_u64 s[18:19], s[18:19], s[12:13]
	s_or_b64 s[20:21], s[18:19], s[10:11]
	s_delay_alu instid0(SALU_CYCLE_1) | instskip(NEXT) | instid1(SALU_CYCLE_1)
	s_and_b64 s[20:21], s[20:21], 0xffffffff00000000
	s_cmp_lg_u64 s[20:21], 0
	s_cbranch_scc0 .LBB8_86
; %bb.4:
	s_ashr_i32 s20, s11, 31
	s_delay_alu instid0(SALU_CYCLE_1) | instskip(NEXT) | instid1(SALU_CYCLE_1)
	s_mov_b32 s21, s20
	s_add_nc_u64 s[24:25], s[10:11], s[20:21]
	s_delay_alu instid0(SALU_CYCLE_1) | instskip(NEXT) | instid1(SALU_CYCLE_1)
	s_xor_b64 s[24:25], s[24:25], s[20:21]
	s_cvt_f32_u32 s15, s24
	s_cvt_f32_u32 s22, s25
	s_sub_nc_u64 s[30:31], 0, s[24:25]
	s_delay_alu instid0(SALU_CYCLE_2) | instskip(NEXT) | instid1(SALU_CYCLE_3)
	s_fmamk_f32 s15, s22, 0x4f800000, s15
	v_s_rcp_f32 s15, s15
	s_delay_alu instid0(TRANS32_DEP_1) | instskip(NEXT) | instid1(SALU_CYCLE_3)
	s_mul_f32 s15, s15, 0x5f7ffffc
	s_mul_f32 s22, s15, 0x2f800000
	s_delay_alu instid0(SALU_CYCLE_3) | instskip(NEXT) | instid1(SALU_CYCLE_3)
	s_trunc_f32 s22, s22
	s_fmamk_f32 s15, s22, 0xcf800000, s15
	s_cvt_u32_f32 s29, s22
	s_delay_alu instid0(SALU_CYCLE_2) | instskip(NEXT) | instid1(SALU_CYCLE_3)
	s_cvt_u32_f32 s28, s15
	s_mul_u64 s[34:35], s[30:31], s[28:29]
	s_delay_alu instid0(SALU_CYCLE_1)
	s_mul_hi_u32 s37, s28, s35
	s_mul_i32 s36, s28, s35
	s_mul_hi_u32 s22, s28, s34
	s_mul_i32 s27, s29, s34
	s_add_nc_u64 s[36:37], s[22:23], s[36:37]
	s_mul_hi_u32 s15, s29, s34
	s_mul_hi_u32 s33, s29, s35
	s_add_co_u32 s22, s36, s27
	s_add_co_ci_u32 s22, s37, s15
	s_mul_i32 s34, s29, s35
	s_add_co_ci_u32 s35, s33, 0
	s_delay_alu instid0(SALU_CYCLE_1) | instskip(NEXT) | instid1(SALU_CYCLE_1)
	s_add_nc_u64 s[34:35], s[22:23], s[34:35]
	s_add_co_u32 s28, s28, s34
	s_cselect_b32 s15, -1, 0
	s_delay_alu instid0(SALU_CYCLE_1) | instskip(SKIP_1) | instid1(SALU_CYCLE_1)
	s_cmp_lg_u32 s15, 0
	s_add_co_ci_u32 s29, s29, s35
	s_mul_u64 s[30:31], s[30:31], s[28:29]
	s_delay_alu instid0(SALU_CYCLE_1)
	s_mul_hi_u32 s35, s28, s31
	s_mul_i32 s34, s28, s31
	s_mul_hi_u32 s22, s28, s30
	s_mul_i32 s27, s29, s30
	s_add_nc_u64 s[34:35], s[22:23], s[34:35]
	s_mul_hi_u32 s15, s29, s30
	s_mul_hi_u32 s33, s29, s31
	s_add_co_u32 s22, s34, s27
	s_add_co_ci_u32 s22, s35, s15
	s_mul_i32 s30, s29, s31
	s_add_co_ci_u32 s31, s33, 0
	s_delay_alu instid0(SALU_CYCLE_1) | instskip(NEXT) | instid1(SALU_CYCLE_1)
	s_add_nc_u64 s[30:31], s[22:23], s[30:31]
	s_add_co_u32 s15, s28, s30
	s_cselect_b32 s22, -1, 0
	s_delay_alu instid0(SALU_CYCLE_1) | instskip(SKIP_2) | instid1(SALU_CYCLE_1)
	s_cmp_lg_u32 s22, 0
	s_add_co_ci_u32 s27, s29, s31
	s_ashr_i32 s28, s19, 31
	s_mov_b32 s29, s28
	s_delay_alu instid0(SALU_CYCLE_1) | instskip(NEXT) | instid1(SALU_CYCLE_1)
	s_add_nc_u64 s[30:31], s[18:19], s[28:29]
	s_xor_b64 s[30:31], s[30:31], s[28:29]
	s_delay_alu instid0(SALU_CYCLE_1)
	s_mul_hi_u32 s35, s30, s27
	s_mul_i32 s34, s30, s27
	s_mul_hi_u32 s22, s30, s15
	s_mul_hi_u32 s33, s31, s15
	s_mul_i32 s15, s31, s15
	s_add_nc_u64 s[34:35], s[22:23], s[34:35]
	s_mul_hi_u32 s19, s31, s27
	s_add_co_u32 s15, s34, s15
	s_add_co_ci_u32 s22, s35, s33
	s_mul_i32 s36, s31, s27
	s_add_co_ci_u32 s37, s19, 0
	s_delay_alu instid0(SALU_CYCLE_1) | instskip(NEXT) | instid1(SALU_CYCLE_1)
	s_add_nc_u64 s[34:35], s[22:23], s[36:37]
	s_and_b64 s[36:37], s[34:35], 0xffffffff00000000
	s_delay_alu instid0(SALU_CYCLE_1) | instskip(NEXT) | instid1(SALU_CYCLE_1)
	s_or_b32 s36, s36, s34
	s_mul_u64 s[34:35], s[24:25], s[36:37]
	s_add_nc_u64 s[38:39], s[36:37], 1
	s_sub_co_u32 s15, s30, s34
	s_cselect_b32 s19, -1, 0
	s_sub_co_i32 s22, s31, s35
	s_cmp_lg_u32 s19, 0
	s_add_nc_u64 s[40:41], s[36:37], 2
	s_sub_co_ci_u32 s22, s22, s25
	s_sub_co_u32 s27, s15, s24
	s_cselect_b32 s30, -1, 0
	s_delay_alu instid0(SALU_CYCLE_1) | instskip(SKIP_1) | instid1(SALU_CYCLE_1)
	s_cmp_lg_u32 s30, 0
	s_sub_co_ci_u32 s22, s22, 0
	s_cmp_ge_u32 s22, s25
	s_cselect_b32 s30, -1, 0
	s_cmp_ge_u32 s27, s24
	s_cselect_b32 s27, -1, 0
	s_cmp_eq_u32 s22, s25
	s_cselect_b32 s22, s27, s30
	s_delay_alu instid0(SALU_CYCLE_1) | instskip(SKIP_4) | instid1(SALU_CYCLE_1)
	s_cmp_lg_u32 s22, 0
	s_cselect_b32 s22, s40, s38
	s_cselect_b32 s27, s41, s39
	s_cmp_lg_u32 s19, 0
	s_sub_co_ci_u32 s19, s31, s35
	s_cmp_ge_u32 s19, s25
	s_cselect_b32 s30, -1, 0
	s_cmp_ge_u32 s15, s24
	s_cselect_b32 s15, -1, 0
	s_cmp_eq_u32 s19, s25
	s_cselect_b32 s15, s15, s30
	s_delay_alu instid0(SALU_CYCLE_1) | instskip(SKIP_3) | instid1(SALU_CYCLE_1)
	s_cmp_lg_u32 s15, 0
	s_cselect_b32 s25, s27, s37
	s_cselect_b32 s24, s22, s36
	s_xor_b64 s[20:21], s[28:29], s[20:21]
	s_xor_b64 s[24:25], s[24:25], s[20:21]
	s_delay_alu instid0(SALU_CYCLE_1)
	s_sub_nc_u64 s[20:21], s[24:25], s[20:21]
	s_and_not1_b32 vcc_lo, exec_lo, s23
	s_cbranch_vccnz .LBB8_6
.LBB8_5:
	v_rcp_iflag_f32_e32 v2, v1
	s_sub_co_i32 s19, 0, s10
	v_nop
	s_delay_alu instid0(TRANS32_DEP_1) | instskip(NEXT) | instid1(VALU_DEP_1)
	v_mul_f32_e32 v2, 0x4f7ffffe, v2
	v_cvt_u32_f32_e32 v2, v2
	s_delay_alu instid0(VALU_DEP_1) | instskip(SKIP_1) | instid1(SALU_CYCLE_1)
	v_readfirstlane_b32 s15, v2
	s_mul_i32 s19, s19, s15
	s_mul_hi_u32 s19, s15, s19
	s_delay_alu instid0(SALU_CYCLE_1) | instskip(NEXT) | instid1(SALU_CYCLE_1)
	s_add_co_i32 s15, s15, s19
	s_mul_hi_u32 s15, s18, s15
	s_delay_alu instid0(SALU_CYCLE_1) | instskip(NEXT) | instid1(SALU_CYCLE_1)
	s_mul_i32 s19, s15, s10
	s_sub_co_i32 s18, s18, s19
	s_add_co_i32 s19, s15, 1
	s_sub_co_i32 s20, s18, s10
	s_cmp_ge_u32 s18, s10
	s_cselect_b32 s15, s19, s15
	s_cselect_b32 s18, s20, s18
	s_add_co_i32 s19, s15, 1
	s_cmp_ge_u32 s18, s10
	s_cselect_b32 s20, s19, s15
.LBB8_6:
	s_add_nc_u64 s[16:17], s[16:17], 1
	s_delay_alu instid0(SALU_CYCLE_1) | instskip(NEXT) | instid1(SALU_CYCLE_1)
	s_mul_u64 s[16:17], s[16:17], s[12:13]
	s_add_nc_u64 s[16:17], s[16:17], -1
	s_delay_alu instid0(SALU_CYCLE_1) | instskip(NEXT) | instid1(SALU_CYCLE_1)
	s_or_b64 s[18:19], s[16:17], s[10:11]
	s_and_b64 s[18:19], s[18:19], 0xffffffff00000000
	s_delay_alu instid0(SALU_CYCLE_1)
	s_cmp_lg_u64 s[18:19], 0
	s_cbranch_scc0 .LBB8_87
; %bb.7:
	s_ashr_i32 s18, s11, 31
	s_delay_alu instid0(SALU_CYCLE_1) | instskip(NEXT) | instid1(SALU_CYCLE_1)
	s_mov_b32 s19, s18
	s_add_nc_u64 s[22:23], s[10:11], s[18:19]
	s_delay_alu instid0(SALU_CYCLE_1) | instskip(SKIP_4) | instid1(SALU_CYCLE_2)
	s_xor_b64 s[24:25], s[22:23], s[18:19]
	s_mov_b32 s23, 0
	s_cvt_f32_u32 s15, s24
	s_cvt_f32_u32 s21, s25
	s_sub_nc_u64 s[30:31], 0, s[24:25]
	s_fmamk_f32 s15, s21, 0x4f800000, s15
	s_delay_alu instid0(SALU_CYCLE_3) | instskip(NEXT) | instid1(TRANS32_DEP_1)
	v_s_rcp_f32 s15, s15
	s_mul_f32 s15, s15, 0x5f7ffffc
	s_delay_alu instid0(SALU_CYCLE_3) | instskip(NEXT) | instid1(SALU_CYCLE_3)
	s_mul_f32 s21, s15, 0x2f800000
	s_trunc_f32 s21, s21
	s_delay_alu instid0(SALU_CYCLE_3) | instskip(SKIP_1) | instid1(SALU_CYCLE_2)
	s_fmamk_f32 s15, s21, 0xcf800000, s15
	s_cvt_u32_f32 s29, s21
	s_cvt_u32_f32 s28, s15
	s_delay_alu instid0(SALU_CYCLE_3) | instskip(NEXT) | instid1(SALU_CYCLE_1)
	s_mul_u64 s[34:35], s[30:31], s[28:29]
	s_mul_hi_u32 s37, s28, s35
	s_mul_i32 s36, s28, s35
	s_mul_hi_u32 s22, s28, s34
	s_mul_i32 s21, s29, s34
	s_add_nc_u64 s[36:37], s[22:23], s[36:37]
	s_mul_hi_u32 s15, s29, s34
	s_mul_hi_u32 s27, s29, s35
	s_add_co_u32 s21, s36, s21
	s_add_co_ci_u32 s22, s37, s15
	s_mul_i32 s34, s29, s35
	s_add_co_ci_u32 s35, s27, 0
	s_delay_alu instid0(SALU_CYCLE_1) | instskip(NEXT) | instid1(SALU_CYCLE_1)
	s_add_nc_u64 s[34:35], s[22:23], s[34:35]
	s_add_co_u32 s28, s28, s34
	s_cselect_b32 s15, -1, 0
	s_delay_alu instid0(SALU_CYCLE_1) | instskip(SKIP_1) | instid1(SALU_CYCLE_1)
	s_cmp_lg_u32 s15, 0
	s_add_co_ci_u32 s29, s29, s35
	s_mul_u64 s[30:31], s[30:31], s[28:29]
	s_delay_alu instid0(SALU_CYCLE_1)
	s_mul_hi_u32 s35, s28, s31
	s_mul_i32 s34, s28, s31
	s_mul_hi_u32 s22, s28, s30
	s_mul_i32 s21, s29, s30
	s_add_nc_u64 s[34:35], s[22:23], s[34:35]
	s_mul_hi_u32 s15, s29, s30
	s_mul_hi_u32 s27, s29, s31
	s_add_co_u32 s21, s34, s21
	s_add_co_ci_u32 s22, s35, s15
	s_mul_i32 s30, s29, s31
	s_add_co_ci_u32 s31, s27, 0
	s_delay_alu instid0(SALU_CYCLE_1) | instskip(NEXT) | instid1(SALU_CYCLE_1)
	s_add_nc_u64 s[30:31], s[22:23], s[30:31]
	s_add_co_u32 s15, s28, s30
	s_cselect_b32 s21, -1, 0
	s_delay_alu instid0(SALU_CYCLE_1) | instskip(SKIP_2) | instid1(SALU_CYCLE_1)
	s_cmp_lg_u32 s21, 0
	s_add_co_ci_u32 s21, s29, s31
	s_ashr_i32 s28, s17, 31
	s_mov_b32 s29, s28
	s_delay_alu instid0(SALU_CYCLE_1) | instskip(NEXT) | instid1(SALU_CYCLE_1)
	s_add_nc_u64 s[30:31], s[16:17], s[28:29]
	s_xor_b64 s[30:31], s[30:31], s[28:29]
	s_delay_alu instid0(SALU_CYCLE_1)
	s_mul_hi_u32 s35, s30, s21
	s_mul_i32 s34, s30, s21
	s_mul_hi_u32 s22, s30, s15
	s_mul_hi_u32 s27, s31, s15
	s_mul_i32 s15, s31, s15
	s_add_nc_u64 s[34:35], s[22:23], s[34:35]
	s_mul_hi_u32 s17, s31, s21
	s_add_co_u32 s15, s34, s15
	s_add_co_ci_u32 s22, s35, s27
	s_mul_i32 s36, s31, s21
	s_add_co_ci_u32 s37, s17, 0
	s_delay_alu instid0(SALU_CYCLE_1) | instskip(NEXT) | instid1(SALU_CYCLE_1)
	s_add_nc_u64 s[34:35], s[22:23], s[36:37]
	s_and_b64 s[36:37], s[34:35], 0xffffffff00000000
	s_delay_alu instid0(SALU_CYCLE_1) | instskip(NEXT) | instid1(SALU_CYCLE_1)
	s_or_b32 s36, s36, s34
	s_mul_u64 s[34:35], s[24:25], s[36:37]
	s_add_nc_u64 s[38:39], s[36:37], 1
	s_sub_co_u32 s15, s30, s34
	s_cselect_b32 s17, -1, 0
	s_sub_co_i32 s21, s31, s35
	s_cmp_lg_u32 s17, 0
	s_add_nc_u64 s[40:41], s[36:37], 2
	s_sub_co_ci_u32 s21, s21, s25
	s_sub_co_u32 s22, s15, s24
	s_cselect_b32 s27, -1, 0
	s_delay_alu instid0(SALU_CYCLE_1) | instskip(SKIP_1) | instid1(SALU_CYCLE_1)
	s_cmp_lg_u32 s27, 0
	s_sub_co_ci_u32 s21, s21, 0
	s_cmp_ge_u32 s21, s25
	s_cselect_b32 s27, -1, 0
	s_cmp_ge_u32 s22, s24
	s_cselect_b32 s22, -1, 0
	s_cmp_eq_u32 s21, s25
	s_cselect_b32 s21, s22, s27
	s_delay_alu instid0(SALU_CYCLE_1) | instskip(SKIP_4) | instid1(SALU_CYCLE_1)
	s_cmp_lg_u32 s21, 0
	s_cselect_b32 s21, s40, s38
	s_cselect_b32 s22, s41, s39
	s_cmp_lg_u32 s17, 0
	s_sub_co_ci_u32 s17, s31, s35
	s_cmp_ge_u32 s17, s25
	s_cselect_b32 s27, -1, 0
	s_cmp_ge_u32 s15, s24
	s_cselect_b32 s15, -1, 0
	s_cmp_eq_u32 s17, s25
	s_cselect_b32 s15, s15, s27
	s_delay_alu instid0(SALU_CYCLE_1) | instskip(SKIP_3) | instid1(SALU_CYCLE_1)
	s_cmp_lg_u32 s15, 0
	s_cselect_b32 s25, s22, s37
	s_cselect_b32 s24, s21, s36
	s_xor_b64 s[18:19], s[28:29], s[18:19]
	s_xor_b64 s[24:25], s[24:25], s[18:19]
	s_delay_alu instid0(SALU_CYCLE_1)
	s_sub_nc_u64 s[24:25], s[24:25], s[18:19]
	s_load_b32 s21, s[0:1], 0x3c
	s_cbranch_execnz .LBB8_9
.LBB8_8:
	v_rcp_iflag_f32_e32 v1, v1
	s_sub_co_i32 s17, 0, s10
	v_nop
	s_delay_alu instid0(TRANS32_DEP_1) | instskip(NEXT) | instid1(VALU_DEP_1)
	v_mul_f32_e32 v1, 0x4f7ffffe, v1
	v_cvt_u32_f32_e32 v1, v1
	s_delay_alu instid0(VALU_DEP_1) | instskip(SKIP_1) | instid1(SALU_CYCLE_1)
	v_readfirstlane_b32 s15, v1
	s_mul_i32 s17, s17, s15
	s_mul_hi_u32 s17, s15, s17
	s_delay_alu instid0(SALU_CYCLE_1) | instskip(NEXT) | instid1(SALU_CYCLE_1)
	s_add_co_i32 s15, s15, s17
	s_mul_hi_u32 s15, s16, s15
	s_delay_alu instid0(SALU_CYCLE_1) | instskip(NEXT) | instid1(SALU_CYCLE_1)
	s_mul_i32 s17, s15, s10
	s_sub_co_i32 s16, s16, s17
	s_add_co_i32 s17, s15, 1
	s_sub_co_i32 s18, s16, s10
	s_cmp_ge_u32 s16, s10
	s_cselect_b32 s15, s17, s15
	s_cselect_b32 s16, s18, s16
	s_add_co_i32 s17, s15, 1
	s_cmp_ge_u32 s16, s10
	s_cselect_b32 s24, s17, s15
.LBB8_9:
	s_bfe_u32 s15, ttmp6, 0x40010
	s_bfe_u32 s16, ttmp6, 0x40004
	s_add_co_i32 s15, s15, 1
	s_wait_kmcnt 0x0
	s_lshr_b32 s28, s21, 16
	s_mul_i32 s15, ttmp7, s15
	v_bfe_u32 v1, v0, 10, 10
	s_add_co_i32 s16, s16, s15
	s_cmp_eq_u32 s26, 0
	s_cselect_b32 s15, ttmp7, s16
	s_mov_b32 s16, exec_lo
	v_mad_u32 v2, s15, s28, v1
	s_mov_b32 s15, 0
	s_delay_alu instid0(VALU_DEP_1)
	v_cmpx_gt_i32_e64 s5, v2
	s_cbranch_execz .LBB8_84
; %bb.10:
	s_mov_b32 s16, s5
	s_ashr_i32 s17, s5, 31
	v_cvt_f32_u32_e32 v1, s16
	s_ashr_i32 s19, s6, 31
	s_mov_b32 s18, s6
	s_mul_i32 s4, s4, s12
	s_mul_u64 s[22:23], s[18:19], s[16:17]
	v_rcp_iflag_f32_e32 v1, v1
	s_add_co_i32 s4, s20, s4
	s_mul_u64 s[2:3], s[22:23], s[2:3]
	s_mul_i32 s7, s7, s14
	s_add_co_i32 s33, s24, 1
	s_lshl_b64 s[2:3], s[2:3], 3
	s_add_co_i32 s14, s7, s4
	v_nop
	v_mul_f32_e32 v1, 0x4f7ffffe, v1
	s_and_b32 s7, s21, 0xffff
	s_ashr_i32 s21, s8, 31
	s_ashr_i32 s23, s9, 31
	v_and_b32_e32 v34, 0x3ff, v0
	v_mov_b32_e32 v0, 0
	v_cvt_u32_f32_e32 v1, v1
	s_cmp_gt_i32 s33, s4
	s_clause 0x1
	s_load_b32 s53, s[0:1], 0x34
	s_load_b128 s[36:39], s[0:1], 0x0
	s_cselect_b32 s50, -1, 0
	s_wait_xcnt 0x0
	s_sub_co_i32 s0, 0, s5
	s_ashr_i32 s51, s5, 31
	v_mul_lo_u32 v4, s0, v1
	s_add_co_i32 s20, s5, s51
	s_mul_i32 s30, s9, s8
	s_xor_b32 s52, s20, s51
	s_mul_i32 s26, s30, s14
	v_cvt_f32_u32_e32 v3, s52
	s_sub_co_i32 s1, 0, s52
	s_ashr_i32 s27, s26, 31
	v_cmp_gt_i32_e64 s0, s6, v34
	s_ashr_i32 s31, s30, 31
	v_rcp_iflag_f32_e32 v3, v3
	v_mul_hi_u32 v4, v1, v4
	s_lshl_b64 s[34:35], s[26:27], 3
	s_mov_b32 s20, s8
	s_mov_b32 s22, s9
	s_mov_b64 s[24:25], 0xffffffff
	s_wait_kmcnt 0x0
	s_add_nc_u64 s[26:27], s[36:37], s[2:3]
	v_mul_f32_e32 v3, 0x4f7ffffe, v3
	s_mul_i32 s53, s53, s28
	s_add_nc_u64 s[28:29], s[38:39], s[34:35]
	s_lshl_b64 s[30:31], s[30:31], 3
	s_ashr_i32 s34, s17, 31
	v_add_nc_u32_e32 v36, v1, v4
	v_cvt_u32_f32_e32 v3, v3
	s_mov_b32 s54, 0
	s_delay_alu instid0(VALU_DEP_1) | instskip(NEXT) | instid1(VALU_DEP_1)
	v_mul_lo_u32 v5, s1, v3
	v_mul_hi_u32 v5, v3, v5
	s_delay_alu instid0(VALU_DEP_1)
	v_add_nc_u32_e32 v35, v3, v5
	s_branch .LBB8_12
.LBB8_11:                               ;   in Loop: Header=BB8_12 Depth=1
	s_or_b32 exec_lo, exec_lo, s35
	v_add_nc_u32_e32 v2, s53, v2
	s_delay_alu instid0(VALU_DEP_1) | instskip(SKIP_1) | instid1(SALU_CYCLE_1)
	v_cmp_le_i32_e32 vcc_lo, s5, v2
	s_or_b32 s54, vcc_lo, s54
	s_and_not1_b32 exec_lo, exec_lo, s54
	s_cbranch_execz .LBB8_84
.LBB8_12:                               ; =>This Loop Header: Depth=1
                                        ;     Child Loop BB8_27 Depth 2
                                        ;       Child Loop BB8_42 Depth 3
                                        ;         Child Loop BB8_54 Depth 4
                                        ;           Child Loop BB8_69 Depth 5
	v_ashrrev_i32_e32 v3, 31, v2
	s_mov_b32 s1, exec_lo
                                        ; implicit-def: $vgpr4_vgpr5
	s_delay_alu instid0(VALU_DEP_1) | instskip(NEXT) | instid1(VALU_DEP_1)
	v_or_b32_e32 v1, s17, v3
	v_cmpx_ne_u64_e32 0, v[0:1]
	s_xor_b32 s1, exec_lo, s1
	s_cbranch_execz .LBB8_14
; %bb.13:                               ;   in Loop: Header=BB8_12 Depth=1
	v_ashrrev_i32_e32 v1, 31, v2
	s_delay_alu instid0(VALU_DEP_1) | instskip(NEXT) | instid1(VALU_DEP_1)
	v_add_nc_u32_e32 v4, v2, v1
	v_xor_b32_e32 v4, v4, v1
	s_delay_alu instid0(VALU_DEP_1) | instskip(NEXT) | instid1(VALU_DEP_1)
	v_mul_hi_u32 v5, v4, v35
	v_mul_lo_u32 v6, v5, s52
	s_delay_alu instid0(VALU_DEP_1) | instskip(SKIP_1) | instid1(VALU_DEP_2)
	v_dual_sub_nc_u32 v4, v4, v6 :: v_dual_add_nc_u32 v6, 1, v5
	v_xor_b32_e32 v1, s51, v1
	v_cmp_le_u32_e32 vcc_lo, s52, v4
	s_delay_alu instid0(VALU_DEP_3) | instskip(NEXT) | instid1(VALU_DEP_1)
	v_cndmask_b32_e32 v5, v5, v6, vcc_lo
	v_add_nc_u32_e32 v6, 1, v5
	v_subrev_nc_u32_e32 v7, s52, v4
	s_delay_alu instid0(VALU_DEP_1) | instskip(NEXT) | instid1(VALU_DEP_1)
	v_cndmask_b32_e32 v4, v4, v7, vcc_lo
	v_cmp_le_u32_e32 vcc_lo, s52, v4
	s_delay_alu instid0(VALU_DEP_4) | instskip(NEXT) | instid1(VALU_DEP_1)
	v_cndmask_b32_e32 v4, v5, v6, vcc_lo
	v_xor_b32_e32 v4, v4, v1
	s_delay_alu instid0(VALU_DEP_1) | instskip(NEXT) | instid1(VALU_DEP_1)
	v_sub_nc_u32_e32 v4, v4, v1
	v_ashrrev_i32_e32 v5, 31, v4
.LBB8_14:                               ;   in Loop: Header=BB8_12 Depth=1
	s_and_not1_saveexec_b32 s1, s1
	s_cbranch_execz .LBB8_16
; %bb.15:                               ;   in Loop: Header=BB8_12 Depth=1
	v_mul_hi_u32 v1, v2, v36
	s_delay_alu instid0(VALU_DEP_1) | instskip(NEXT) | instid1(VALU_DEP_1)
	v_mul_lo_u32 v4, v1, s16
	v_dual_add_nc_u32 v5, 1, v1 :: v_dual_sub_nc_u32 v4, v2, v4
	s_delay_alu instid0(VALU_DEP_1) | instskip(SKIP_1) | instid1(VALU_DEP_2)
	v_subrev_nc_u32_e32 v6, s16, v4
	v_cmp_le_u32_e32 vcc_lo, s16, v4
	v_dual_cndmask_b32 v4, v4, v6 :: v_dual_cndmask_b32 v1, v1, v5
	s_delay_alu instid0(VALU_DEP_1) | instskip(NEXT) | instid1(VALU_DEP_2)
	v_cmp_le_u32_e32 vcc_lo, s16, v4
	v_add_nc_u32_e32 v5, 1, v1
	s_delay_alu instid0(VALU_DEP_1)
	v_dual_cndmask_b32 v4, v1, v5 :: v_dual_mov_b32 v5, v0
.LBB8_16:                               ;   in Loop: Header=BB8_12 Depth=1
	s_or_b32 exec_lo, exec_lo, s1
	s_delay_alu instid0(VALU_DEP_1) | instskip(SKIP_1) | instid1(VALU_DEP_1)
	v_mul_u64_e32 v[6:7], s[16:17], v[4:5]
	s_mov_b32 s1, exec_lo
	v_sub_nc_u64_e32 v[6:7], v[2:3], v[6:7]
	s_delay_alu instid0(VALU_DEP_1) | instskip(NEXT) | instid1(VALU_DEP_1)
	v_mul_u64_e32 v[8:9], s[20:21], v[6:7]
                                        ; implicit-def: $vgpr6_vgpr7
	v_or_b32_e32 v1, s17, v9
	s_delay_alu instid0(VALU_DEP_1)
	v_cmpx_ne_u64_e32 0, v[0:1]
	s_xor_b32 s36, exec_lo, s1
	s_cbranch_execz .LBB8_18
; %bb.17:                               ;   in Loop: Header=BB8_12 Depth=1
	s_mov_b32 s35, s34
	v_dual_mov_b32 v11, v0 :: v_dual_ashrrev_i32 v6, 31, v9
	s_add_nc_u64 s[2:3], s[16:17], s[34:35]
	s_delay_alu instid0(SALU_CYCLE_1) | instskip(NEXT) | instid1(VALU_DEP_1)
	s_xor_b64 s[2:3], s[2:3], s[34:35]
	v_mov_b32_e32 v7, v6
	s_cvt_f32_u32 s1, s2
	s_cvt_f32_u32 s14, s3
	s_sub_nc_u64 s[40:41], 0, s[2:3]
	s_delay_alu instid0(VALU_DEP_1) | instskip(NEXT) | instid1(SALU_CYCLE_1)
	v_add_nc_u64_e32 v[8:9], v[8:9], v[6:7]
	s_fmamk_f32 s1, s14, 0x4f800000, s1
	v_mov_b32_e32 v15, v0
	s_delay_alu instid0(SALU_CYCLE_2) | instskip(NEXT) | instid1(VALU_DEP_2)
	v_s_rcp_f32 s1, s1
	v_xor_b32_e32 v10, v8, v6
	s_delay_alu instid0(VALU_DEP_3) | instskip(NEXT) | instid1(TRANS32_DEP_1)
	v_dual_mov_b32 v19, v0 :: v_dual_bitop2_b32 v14, v9, v6 bitop3:0x14
	s_mul_f32 s1, s1, 0x5f7ffffc
	s_delay_alu instid0(SALU_CYCLE_3) | instskip(NEXT) | instid1(SALU_CYCLE_3)
	s_mul_f32 s14, s1, 0x2f800000
	s_trunc_f32 s14, s14
	s_delay_alu instid0(SALU_CYCLE_3) | instskip(SKIP_1) | instid1(SALU_CYCLE_2)
	s_fmamk_f32 s1, s14, 0xcf800000, s1
	s_cvt_u32_f32 s39, s14
	s_cvt_u32_f32 s38, s1
	s_delay_alu instid0(SALU_CYCLE_3) | instskip(NEXT) | instid1(SALU_CYCLE_1)
	s_mul_u64 s[42:43], s[40:41], s[38:39]
	s_mul_hi_u32 s45, s38, s43
	s_mul_i32 s44, s38, s43
	s_mul_hi_u32 s14, s38, s42
	s_mul_i32 s35, s39, s42
	s_add_nc_u64 s[44:45], s[14:15], s[44:45]
	s_mul_hi_u32 s1, s39, s42
	s_mul_hi_u32 s37, s39, s43
	s_add_co_u32 s14, s44, s35
	s_add_co_ci_u32 s14, s45, s1
	s_mul_i32 s42, s39, s43
	s_add_co_ci_u32 s43, s37, 0
	s_delay_alu instid0(SALU_CYCLE_1) | instskip(NEXT) | instid1(SALU_CYCLE_1)
	s_add_nc_u64 s[42:43], s[14:15], s[42:43]
	s_add_co_u32 s38, s38, s42
	s_cselect_b32 s1, -1, 0
	s_delay_alu instid0(SALU_CYCLE_1) | instskip(SKIP_1) | instid1(SALU_CYCLE_1)
	s_cmp_lg_u32 s1, 0
	s_add_co_ci_u32 s39, s39, s43
	s_mul_u64 s[40:41], s[40:41], s[38:39]
	s_delay_alu instid0(SALU_CYCLE_1)
	s_mul_hi_u32 s43, s38, s41
	s_mul_i32 s42, s38, s41
	s_mul_hi_u32 s14, s38, s40
	s_mul_i32 s35, s39, s40
	s_add_nc_u64 s[42:43], s[14:15], s[42:43]
	s_mul_hi_u32 s1, s39, s40
	s_mul_hi_u32 s37, s39, s41
	s_add_co_u32 s14, s42, s35
	s_add_co_ci_u32 s14, s43, s1
	s_mul_i32 s40, s39, s41
	s_add_co_ci_u32 s41, s37, 0
	s_delay_alu instid0(SALU_CYCLE_1) | instskip(NEXT) | instid1(SALU_CYCLE_1)
	s_add_nc_u64 s[40:41], s[14:15], s[40:41]
	s_add_co_u32 s38, s38, s40
	s_cselect_b32 s1, -1, 0
	v_mul_hi_u32 v18, v10, s38
	s_cmp_lg_u32 s1, 0
	s_add_co_ci_u32 s14, s39, s41
	s_and_b64 s[40:41], s[38:39], s[24:25]
	v_mul_u64_e32 v[12:13], s[14:15], v[10:11]
	v_mul_u64_e32 v[8:9], s[40:41], v[14:15]
	;; [unrolled: 1-line block ×3, first 2 shown]
	s_delay_alu instid0(VALU_DEP_3) | instskip(NEXT) | instid1(VALU_DEP_1)
	v_add_nc_u64_e32 v[12:13], v[18:19], v[12:13]
	v_add_co_u32 v1, vcc_lo, v12, v8
	s_delay_alu instid0(VALU_DEP_2) | instskip(NEXT) | instid1(VALU_DEP_4)
	v_add_co_ci_u32_e32 v18, vcc_lo, v13, v9, vcc_lo
	v_add_co_ci_u32_e32 v17, vcc_lo, 0, v17, vcc_lo
	s_delay_alu instid0(VALU_DEP_1) | instskip(NEXT) | instid1(VALU_DEP_1)
	v_add_nc_u64_e32 v[8:9], v[18:19], v[16:17]
	v_mul_u64_e32 v[12:13], s[2:3], v[8:9]
	s_delay_alu instid0(VALU_DEP_1) | instskip(NEXT) | instid1(VALU_DEP_2)
	v_sub_nc_u32_e32 v1, v14, v13
	v_sub_co_u32 v5, vcc_lo, v10, v12
	s_delay_alu instid0(VALU_DEP_1) | instskip(NEXT) | instid1(VALU_DEP_3)
	v_sub_co_ci_u32_e64 v14, null, v14, v13, vcc_lo
	v_subrev_co_ci_u32_e64 v1, null, s3, v1, vcc_lo
	s_delay_alu instid0(VALU_DEP_3) | instskip(SKIP_1) | instid1(VALU_DEP_3)
	v_sub_co_u32 v7, s1, v5, s2
	v_add_nc_u64_e32 v[12:13], 1, v[8:9]
	v_subrev_co_ci_u32_e64 v1, null, 0, v1, s1
	s_delay_alu instid0(VALU_DEP_3) | instskip(SKIP_1) | instid1(VALU_DEP_3)
	v_cmp_le_u32_e32 vcc_lo, s2, v7
	v_cndmask_b32_e64 v7, 0, -1, vcc_lo
	v_cmp_le_u32_e32 vcc_lo, s3, v1
	v_cndmask_b32_e64 v10, 0, -1, vcc_lo
	;; [unrolled: 2-line block ×4, first 2 shown]
	v_cmp_eq_u32_e32 vcc_lo, s3, v1
	v_cndmask_b32_e32 v1, v10, v7, vcc_lo
	v_cmp_eq_u32_e32 vcc_lo, s3, v14
	v_add_nc_u64_e32 v[10:11], 2, v[8:9]
	v_cndmask_b32_e32 v5, v15, v5, vcc_lo
	s_delay_alu instid0(VALU_DEP_4) | instskip(NEXT) | instid1(VALU_DEP_2)
	v_cmp_ne_u32_e32 vcc_lo, 0, v1
	v_cmp_ne_u32_e64 s1, 0, v5
	s_delay_alu instid0(VALU_DEP_4) | instskip(NEXT) | instid1(VALU_DEP_1)
	v_dual_cndmask_b32 v1, v13, v11, vcc_lo :: v_dual_cndmask_b32 v5, v12, v10, vcc_lo
	v_dual_cndmask_b32 v1, v9, v1, s1 :: v_dual_bitop2_b32 v6, s34, v6 bitop3:0x14
	s_delay_alu instid0(VALU_DEP_1) | instskip(NEXT) | instid1(VALU_DEP_2)
	v_dual_cndmask_b32 v5, v8, v5, s1 :: v_dual_mov_b32 v7, v6
	v_xor_b32_e32 v9, v1, v6
	s_delay_alu instid0(VALU_DEP_2) | instskip(NEXT) | instid1(VALU_DEP_1)
	v_xor_b32_e32 v8, v5, v6
	v_sub_nc_u64_e32 v[6:7], v[8:9], v[6:7]
                                        ; implicit-def: $vgpr8_vgpr9
.LBB8_18:                               ;   in Loop: Header=BB8_12 Depth=1
	s_and_not1_saveexec_b32 s1, s36
	s_cbranch_execz .LBB8_20
; %bb.19:                               ;   in Loop: Header=BB8_12 Depth=1
	s_delay_alu instid0(VALU_DEP_3) | instskip(NEXT) | instid1(VALU_DEP_1)
	v_mul_hi_u32 v1, v8, v36
	v_mul_lo_u32 v5, v1, s16
	v_add_nc_u32_e32 v6, 1, v1
	s_delay_alu instid0(VALU_DEP_2) | instskip(NEXT) | instid1(VALU_DEP_1)
	v_sub_nc_u32_e32 v5, v8, v5
	v_cmp_le_u32_e32 vcc_lo, s16, v5
	s_delay_alu instid0(VALU_DEP_3) | instskip(SKIP_1) | instid1(VALU_DEP_1)
	v_cndmask_b32_e32 v1, v1, v6, vcc_lo
	v_subrev_nc_u32_e32 v7, s16, v5
	v_dual_cndmask_b32 v5, v5, v7 :: v_dual_add_nc_u32 v6, 1, v1
	s_delay_alu instid0(VALU_DEP_1) | instskip(NEXT) | instid1(VALU_DEP_2)
	v_cmp_le_u32_e32 vcc_lo, s16, v5
	v_cndmask_b32_e32 v6, v1, v6, vcc_lo
.LBB8_20:                               ;   in Loop: Header=BB8_12 Depth=1
	s_or_b32 exec_lo, exec_lo, s1
	v_add_nc_u64_e32 v[10:11], 1, v[2:3]
	s_mov_b32 s1, exec_lo
	s_delay_alu instid0(VALU_DEP_1) | instskip(NEXT) | instid1(VALU_DEP_1)
	v_mad_nc_u64_u32 v[8:9], v10, s20, -1
	v_mad_u32 v1, v11, s20, v9
	s_delay_alu instid0(VALU_DEP_1) | instskip(NEXT) | instid1(VALU_DEP_1)
	v_mad_u32 v9, v10, s21, v1
                                        ; implicit-def: $vgpr10_vgpr11
	v_or_b32_e32 v1, s17, v9
	s_delay_alu instid0(VALU_DEP_1)
	v_cmpx_ne_u64_e32 0, v[0:1]
	s_xor_b32 s36, exec_lo, s1
	s_cbranch_execnz .LBB8_23
; %bb.21:                               ;   in Loop: Header=BB8_12 Depth=1
	s_and_not1_saveexec_b32 s1, s36
	s_cbranch_execnz .LBB8_24
.LBB8_22:                               ;   in Loop: Header=BB8_12 Depth=1
	s_or_b32 exec_lo, exec_lo, s1
	s_and_saveexec_b32 s35, s0
	s_cbranch_execz .LBB8_11
	s_branch .LBB8_25
.LBB8_23:                               ;   in Loop: Header=BB8_12 Depth=1
	s_mov_b32 s35, s34
	v_dual_mov_b32 v13, v0 :: v_dual_ashrrev_i32 v10, 31, v9
	s_add_nc_u64 s[2:3], s[16:17], s[34:35]
	v_mov_b32_e32 v21, v0
	s_xor_b64 s[2:3], s[2:3], s[34:35]
	s_delay_alu instid0(VALU_DEP_2) | instskip(SKIP_3) | instid1(VALU_DEP_1)
	v_mov_b32_e32 v11, v10
	s_cvt_f32_u32 s1, s2
	s_cvt_f32_u32 s14, s3
	s_sub_nc_u64 s[40:41], 0, s[2:3]
	v_add_nc_u64_e32 v[8:9], v[8:9], v[10:11]
	s_delay_alu instid0(SALU_CYCLE_1) | instskip(SKIP_1) | instid1(SALU_CYCLE_2)
	s_fmamk_f32 s1, s14, 0x4f800000, s1
	v_mov_b32_e32 v17, v0
	v_s_rcp_f32 s1, s1
	s_delay_alu instid0(VALU_DEP_2) | instskip(NEXT) | instid1(VALU_DEP_3)
	v_xor_b32_e32 v12, v8, v10
	v_xor_b32_e32 v16, v9, v10
	s_delay_alu instid0(TRANS32_DEP_1) | instskip(NEXT) | instid1(SALU_CYCLE_3)
	s_mul_f32 s1, s1, 0x5f7ffffc
	s_mul_f32 s14, s1, 0x2f800000
	s_delay_alu instid0(SALU_CYCLE_3) | instskip(NEXT) | instid1(SALU_CYCLE_3)
	s_trunc_f32 s14, s14
	s_fmamk_f32 s1, s14, 0xcf800000, s1
	s_cvt_u32_f32 s39, s14
	s_delay_alu instid0(SALU_CYCLE_2) | instskip(NEXT) | instid1(SALU_CYCLE_3)
	s_cvt_u32_f32 s38, s1
	s_mul_u64 s[42:43], s[40:41], s[38:39]
	s_delay_alu instid0(SALU_CYCLE_1)
	s_mul_hi_u32 s45, s38, s43
	s_mul_i32 s44, s38, s43
	s_mul_hi_u32 s14, s38, s42
	s_mul_i32 s35, s39, s42
	s_add_nc_u64 s[44:45], s[14:15], s[44:45]
	s_mul_hi_u32 s1, s39, s42
	s_mul_hi_u32 s37, s39, s43
	s_add_co_u32 s14, s44, s35
	s_add_co_ci_u32 s14, s45, s1
	s_mul_i32 s42, s39, s43
	s_add_co_ci_u32 s43, s37, 0
	s_delay_alu instid0(SALU_CYCLE_1) | instskip(NEXT) | instid1(SALU_CYCLE_1)
	s_add_nc_u64 s[42:43], s[14:15], s[42:43]
	s_add_co_u32 s38, s38, s42
	s_cselect_b32 s1, -1, 0
	s_delay_alu instid0(SALU_CYCLE_1) | instskip(SKIP_1) | instid1(SALU_CYCLE_1)
	s_cmp_lg_u32 s1, 0
	s_add_co_ci_u32 s39, s39, s43
	s_mul_u64 s[40:41], s[40:41], s[38:39]
	s_delay_alu instid0(SALU_CYCLE_1)
	s_mul_hi_u32 s43, s38, s41
	s_mul_i32 s42, s38, s41
	s_mul_hi_u32 s14, s38, s40
	s_mul_i32 s35, s39, s40
	s_add_nc_u64 s[42:43], s[14:15], s[42:43]
	s_mul_hi_u32 s1, s39, s40
	s_mul_hi_u32 s37, s39, s41
	s_add_co_u32 s14, s42, s35
	s_add_co_ci_u32 s14, s43, s1
	s_mul_i32 s40, s39, s41
	s_add_co_ci_u32 s41, s37, 0
	s_delay_alu instid0(SALU_CYCLE_1) | instskip(NEXT) | instid1(SALU_CYCLE_1)
	s_add_nc_u64 s[40:41], s[14:15], s[40:41]
	s_add_co_u32 s38, s38, s40
	s_cselect_b32 s1, -1, 0
	v_mul_hi_u32 v20, v12, s38
	s_cmp_lg_u32 s1, 0
	s_add_co_ci_u32 s14, s39, s41
	s_and_b64 s[40:41], s[38:39], s[24:25]
	v_mul_u64_e32 v[14:15], s[14:15], v[12:13]
	v_mul_u64_e32 v[8:9], s[40:41], v[16:17]
	;; [unrolled: 1-line block ×3, first 2 shown]
	s_delay_alu instid0(VALU_DEP_3) | instskip(NEXT) | instid1(VALU_DEP_1)
	v_add_nc_u64_e32 v[14:15], v[20:21], v[14:15]
	v_add_co_u32 v1, vcc_lo, v14, v8
	s_delay_alu instid0(VALU_DEP_2) | instskip(NEXT) | instid1(VALU_DEP_4)
	v_add_co_ci_u32_e32 v20, vcc_lo, v15, v9, vcc_lo
	v_add_co_ci_u32_e32 v19, vcc_lo, 0, v19, vcc_lo
	s_delay_alu instid0(VALU_DEP_1) | instskip(NEXT) | instid1(VALU_DEP_1)
	v_add_nc_u64_e32 v[8:9], v[20:21], v[18:19]
	v_mul_u64_e32 v[14:15], s[2:3], v[8:9]
	s_delay_alu instid0(VALU_DEP_1) | instskip(SKIP_1) | instid1(VALU_DEP_3)
	v_sub_co_u32 v3, vcc_lo, v12, v14
	v_add_nc_u64_e32 v[12:13], 2, v[8:9]
	v_sub_nc_u32_e32 v1, v16, v15
	v_sub_co_ci_u32_e64 v7, null, v16, v15, vcc_lo
	s_delay_alu instid0(VALU_DEP_4) | instskip(NEXT) | instid1(VALU_DEP_3)
	v_sub_co_u32 v5, s1, v3, s2
	v_subrev_co_ci_u32_e64 v1, null, s3, v1, vcc_lo
	v_add_nc_u64_e32 v[14:15], 1, v[8:9]
	s_delay_alu instid0(VALU_DEP_3) | instskip(NEXT) | instid1(VALU_DEP_3)
	v_cmp_le_u32_e32 vcc_lo, s2, v5
	v_subrev_co_ci_u32_e64 v1, null, 0, v1, s1
	v_cndmask_b32_e64 v5, 0, -1, vcc_lo
	s_delay_alu instid0(VALU_DEP_2)
	v_cmp_le_u32_e32 vcc_lo, s3, v1
	v_cndmask_b32_e64 v11, 0, -1, vcc_lo
	v_cmp_le_u32_e32 vcc_lo, s2, v3
	v_cndmask_b32_e64 v3, 0, -1, vcc_lo
	;; [unrolled: 2-line block ×3, first 2 shown]
	v_cmp_eq_u32_e32 vcc_lo, s3, v1
	v_cndmask_b32_e32 v1, v11, v5, vcc_lo
	v_cmp_eq_u32_e32 vcc_lo, s3, v7
	s_delay_alu instid0(VALU_DEP_4) | instskip(NEXT) | instid1(VALU_DEP_3)
	v_cndmask_b32_e32 v3, v16, v3, vcc_lo
	v_cmp_ne_u32_e32 vcc_lo, 0, v1
	v_cndmask_b32_e32 v1, v15, v13, vcc_lo
	s_delay_alu instid0(VALU_DEP_3) | instskip(SKIP_1) | instid1(VALU_DEP_1)
	v_cmp_ne_u32_e64 s1, 0, v3
	v_dual_cndmask_b32 v3, v14, v12, vcc_lo :: v_dual_bitop2_b32 v10, s34, v10 bitop3:0x14
	v_dual_cndmask_b32 v1, v9, v1, s1 :: v_dual_cndmask_b32 v3, v8, v3, s1
	s_delay_alu instid0(VALU_DEP_1) | instskip(NEXT) | instid1(VALU_DEP_2)
	v_dual_mov_b32 v11, v10 :: v_dual_bitop2_b32 v9, v1, v10 bitop3:0x14
	v_xor_b32_e32 v8, v3, v10
	s_delay_alu instid0(VALU_DEP_1)
	v_sub_nc_u64_e32 v[10:11], v[8:9], v[10:11]
                                        ; implicit-def: $vgpr8_vgpr9
	s_and_not1_saveexec_b32 s1, s36
	s_cbranch_execz .LBB8_22
.LBB8_24:                               ;   in Loop: Header=BB8_12 Depth=1
	v_mul_hi_u32 v1, v8, v36
	s_delay_alu instid0(VALU_DEP_1) | instskip(NEXT) | instid1(VALU_DEP_1)
	v_mul_lo_u32 v3, v1, s16
	v_dual_add_nc_u32 v5, 1, v1 :: v_dual_sub_nc_u32 v3, v8, v3
	s_delay_alu instid0(VALU_DEP_1) | instskip(SKIP_1) | instid1(VALU_DEP_2)
	v_subrev_nc_u32_e32 v7, s16, v3
	v_cmp_le_u32_e32 vcc_lo, s16, v3
	v_dual_cndmask_b32 v3, v3, v7, vcc_lo :: v_dual_cndmask_b32 v1, v1, v5, vcc_lo
	s_delay_alu instid0(VALU_DEP_1) | instskip(NEXT) | instid1(VALU_DEP_2)
	v_cmp_le_u32_e32 vcc_lo, s16, v3
	v_add_nc_u32_e32 v5, 1, v1
	s_delay_alu instid0(VALU_DEP_1)
	v_cndmask_b32_e32 v10, v1, v5, vcc_lo
	s_or_b32 exec_lo, exec_lo, s1
	s_and_saveexec_b32 s35, s0
	s_cbranch_execz .LBB8_11
.LBB8_25:                               ;   in Loop: Header=BB8_12 Depth=1
	v_mul_lo_u32 v8, v2, s6
	v_mad_u32 v3, v4, s20, v6
	v_mad_u32 v38, s8, v4, v6
	v_dual_mov_b32 v6, v34 :: v_dual_add_nc_u32 v37, 1, v10
	s_mov_b32 s55, 0
	s_delay_alu instid0(VALU_DEP_4) | instskip(NEXT) | instid1(VALU_DEP_2)
	v_ashrrev_i32_e32 v9, 31, v8
	v_cmp_gt_i32_e64 s1, v37, v3
	s_delay_alu instid0(VALU_DEP_2)
	v_lshl_add_u64 v[4:5], v[8:9], 3, s[26:27]
	s_branch .LBB8_27
.LBB8_26:                               ;   in Loop: Header=BB8_27 Depth=2
	v_add_nc_u32_e32 v6, s7, v6
	s_delay_alu instid0(VALU_DEP_1) | instskip(SKIP_1) | instid1(SALU_CYCLE_1)
	v_cmp_le_i32_e32 vcc_lo, s6, v6
	s_or_b32 s55, vcc_lo, s55
	s_and_not1_b32 exec_lo, exec_lo, s55
	s_cbranch_execz .LBB8_11
.LBB8_27:                               ;   Parent Loop BB8_12 Depth=1
                                        ; =>  This Loop Header: Depth=2
                                        ;       Child Loop BB8_42 Depth 3
                                        ;         Child Loop BB8_54 Depth 4
                                        ;           Child Loop BB8_69 Depth 5
	s_mov_b32 s2, s15
	s_mov_b32 s3, s19
	v_mov_b32_e32 v7, v0
	s_cmp_lg_u64 s[2:3], 0
                                        ; implicit-def: $vgpr12_vgpr13
	s_cselect_b32 s2, -1, 0
	s_delay_alu instid0(SALU_CYCLE_1) | instskip(NEXT) | instid1(SALU_CYCLE_1)
	s_and_saveexec_b32 s3, s2
	s_xor_b32 s3, exec_lo, s3
	s_cbranch_execz .LBB8_29
; %bb.28:                               ;   in Loop: Header=BB8_27 Depth=2
	s_ashr_i32 s36, s19, 31
	v_add_nc_u64_e32 v[8:9], 0, v[6:7]
	s_mov_b32 s37, s36
	v_mov_b32_e32 v11, v0
	s_add_nc_u64 s[38:39], s[18:19], s[36:37]
	v_mov_b32_e32 v13, v0
	s_xor_b64 s[38:39], s[38:39], s[36:37]
	v_mov_b32_e32 v17, v0
	s_cvt_f32_u32 s2, s38
	s_cvt_f32_u32 s14, s39
	s_sub_nc_u64 s[42:43], 0, s[38:39]
	v_dual_mov_b32 v10, v8 :: v_dual_mov_b32 v12, v9
	s_delay_alu instid0(SALU_CYCLE_1) | instskip(NEXT) | instid1(SALU_CYCLE_3)
	s_fmamk_f32 s2, s14, 0x4f800000, s2
	v_s_rcp_f32 s2, s2
	s_delay_alu instid0(TRANS32_DEP_1) | instskip(NEXT) | instid1(SALU_CYCLE_3)
	s_mul_f32 s2, s2, 0x5f7ffffc
	s_mul_f32 s14, s2, 0x2f800000
	s_delay_alu instid0(SALU_CYCLE_3) | instskip(NEXT) | instid1(SALU_CYCLE_3)
	s_trunc_f32 s14, s14
	s_fmamk_f32 s2, s14, 0xcf800000, s2
	s_cvt_u32_f32 s41, s14
	s_delay_alu instid0(SALU_CYCLE_2) | instskip(NEXT) | instid1(SALU_CYCLE_3)
	s_cvt_u32_f32 s40, s2
	s_mul_u64 s[44:45], s[42:43], s[40:41]
	s_delay_alu instid0(SALU_CYCLE_1)
	s_mul_hi_u32 s47, s40, s45
	s_mul_i32 s46, s40, s45
	s_mul_hi_u32 s14, s40, s44
	s_mul_i32 s37, s41, s44
	s_add_nc_u64 s[46:47], s[14:15], s[46:47]
	s_mul_hi_u32 s2, s41, s44
	s_mul_hi_u32 s48, s41, s45
	s_add_co_u32 s14, s46, s37
	s_add_co_ci_u32 s14, s47, s2
	s_mul_i32 s44, s41, s45
	s_add_co_ci_u32 s45, s48, 0
	s_delay_alu instid0(SALU_CYCLE_1) | instskip(NEXT) | instid1(SALU_CYCLE_1)
	s_add_nc_u64 s[44:45], s[14:15], s[44:45]
	s_add_co_u32 s40, s40, s44
	s_cselect_b32 s2, -1, 0
	s_delay_alu instid0(SALU_CYCLE_1) | instskip(SKIP_1) | instid1(SALU_CYCLE_1)
	s_cmp_lg_u32 s2, 0
	s_add_co_ci_u32 s41, s41, s45
	s_mul_u64 s[42:43], s[42:43], s[40:41]
	s_delay_alu instid0(SALU_CYCLE_1)
	s_mul_hi_u32 s45, s40, s43
	s_mul_i32 s44, s40, s43
	s_mul_hi_u32 s14, s40, s42
	s_mul_i32 s37, s41, s42
	s_add_nc_u64 s[44:45], s[14:15], s[44:45]
	s_mul_hi_u32 s2, s41, s42
	s_mul_hi_u32 s46, s41, s43
	s_add_co_u32 s14, s44, s37
	s_add_co_ci_u32 s14, s45, s2
	s_mul_i32 s42, s41, s43
	s_add_co_ci_u32 s43, s46, 0
	s_delay_alu instid0(SALU_CYCLE_1) | instskip(NEXT) | instid1(SALU_CYCLE_1)
	s_add_nc_u64 s[42:43], s[14:15], s[42:43]
	s_add_co_u32 s2, s40, s42
	s_cselect_b32 s14, -1, 0
	v_nop
	v_mul_hi_u32 v16, v8, s2
	s_cmp_lg_u32 s14, 0
	s_add_co_ci_u32 s14, s41, s43
	s_and_b64 s[40:41], s[2:3], s[24:25]
	v_mul_u64_e32 v[10:11], s[14:15], v[10:11]
	v_mul_u64_e32 v[14:15], s[40:41], v[12:13]
	;; [unrolled: 1-line block ×3, first 2 shown]
	s_delay_alu instid0(VALU_DEP_3) | instskip(NEXT) | instid1(VALU_DEP_1)
	v_add_nc_u64_e32 v[10:11], v[16:17], v[10:11]
	v_add_co_u32 v1, vcc_lo, v10, v14
	s_delay_alu instid0(VALU_DEP_2) | instskip(NEXT) | instid1(VALU_DEP_4)
	v_add_co_ci_u32_e32 v16, vcc_lo, v11, v15, vcc_lo
	v_add_co_ci_u32_e32 v13, vcc_lo, 0, v13, vcc_lo
	s_delay_alu instid0(VALU_DEP_1) | instskip(NEXT) | instid1(VALU_DEP_1)
	v_add_nc_u64_e32 v[10:11], v[16:17], v[12:13]
	v_mul_u64_e32 v[12:13], s[38:39], v[10:11]
	v_add_nc_u64_e32 v[14:15], 2, v[10:11]
	s_delay_alu instid0(VALU_DEP_2) | instskip(NEXT) | instid1(VALU_DEP_3)
	v_sub_nc_u32_e32 v1, v9, v13
	v_sub_co_u32 v8, vcc_lo, v8, v12
	s_delay_alu instid0(VALU_DEP_1) | instskip(NEXT) | instid1(VALU_DEP_3)
	v_sub_co_ci_u32_e64 v13, null, v9, v13, vcc_lo
	v_subrev_co_ci_u32_e64 v1, null, s39, v1, vcc_lo
	s_delay_alu instid0(VALU_DEP_3) | instskip(SKIP_1) | instid1(VALU_DEP_3)
	v_sub_co_u32 v12, s2, v8, s38
	v_cmp_le_u32_e32 vcc_lo, s38, v8
	v_subrev_co_ci_u32_e64 v1, null, 0, v1, s2
	s_delay_alu instid0(VALU_DEP_3) | instskip(SKIP_2) | instid1(VALU_DEP_4)
	v_cmp_le_u32_e64 s2, s38, v12
	v_add_nc_u64_e32 v[8:9], 1, v[10:11]
	v_cndmask_b32_e64 v17, 0, -1, vcc_lo
	v_cmp_eq_u32_e32 vcc_lo, s39, v1
	s_delay_alu instid0(VALU_DEP_4) | instskip(SKIP_1) | instid1(VALU_DEP_1)
	v_cndmask_b32_e64 v12, 0, -1, s2
	v_cmp_le_u32_e64 s2, s39, v1
	v_cndmask_b32_e64 v16, 0, -1, s2
	v_cmp_eq_u32_e64 s2, s39, v13
	s_delay_alu instid0(VALU_DEP_2) | instskip(SKIP_2) | instid1(VALU_DEP_3)
	v_cndmask_b32_e32 v1, v16, v12, vcc_lo
	v_cmp_le_u32_e32 vcc_lo, s39, v13
	v_cndmask_b32_e64 v12, 0, -1, vcc_lo
	v_cmp_ne_u32_e32 vcc_lo, 0, v1
	v_dual_cndmask_b32 v9, v9, v15 :: v_dual_cndmask_b32 v8, v8, v14
	s_delay_alu instid0(VALU_DEP_3) | instskip(NEXT) | instid1(VALU_DEP_1)
	v_cndmask_b32_e64 v1, v12, v17, s2
	v_cmp_ne_u32_e32 vcc_lo, 0, v1
	s_delay_alu instid0(VALU_DEP_3) | instskip(SKIP_1) | instid1(VALU_DEP_2)
	v_dual_cndmask_b32 v1, v11, v9 :: v_dual_cndmask_b32 v10, v10, v8
	v_dual_mov_b32 v9, s36 :: v_dual_mov_b32 v8, s36
	v_xor_b32_e32 v11, s36, v1
	s_delay_alu instid0(VALU_DEP_3) | instskip(NEXT) | instid1(VALU_DEP_1)
	v_xor_b32_e32 v10, s36, v10
	v_sub_nc_u64_e32 v[12:13], v[10:11], v[8:9]
.LBB8_29:                               ;   in Loop: Header=BB8_27 Depth=2
	s_or_saveexec_b32 s2, s3
	v_cvt_f32_u32_e32 v10, s18
	s_xor_b32 exec_lo, exec_lo, s2
	s_cbranch_execz .LBB8_31
; %bb.30:                               ;   in Loop: Header=BB8_27 Depth=2
	s_delay_alu instid0(VALU_DEP_1) | instskip(SKIP_2) | instid1(TRANS32_DEP_1)
	v_rcp_iflag_f32_e32 v1, v10
	s_sub_co_i32 s3, 0, s18
	v_mov_b32_e32 v13, v0
	v_mul_f32_e32 v1, 0x4f7ffffe, v1
	s_delay_alu instid0(VALU_DEP_1) | instskip(NEXT) | instid1(VALU_DEP_1)
	v_cvt_u32_f32_e32 v1, v1
	v_mul_lo_u32 v8, s3, v1
	s_delay_alu instid0(VALU_DEP_1) | instskip(NEXT) | instid1(VALU_DEP_1)
	v_mul_hi_u32 v8, v1, v8
	v_add_nc_u32_e32 v1, v1, v8
	s_delay_alu instid0(VALU_DEP_1) | instskip(NEXT) | instid1(VALU_DEP_1)
	v_mul_hi_u32 v1, v6, v1
	v_mul_lo_u32 v8, v1, s18
	s_delay_alu instid0(VALU_DEP_1) | instskip(NEXT) | instid1(VALU_DEP_1)
	v_dual_add_nc_u32 v9, 1, v1 :: v_dual_sub_nc_u32 v8, v6, v8
	v_subrev_nc_u32_e32 v11, s18, v8
	v_cmp_le_u32_e32 vcc_lo, s18, v8
	s_delay_alu instid0(VALU_DEP_2) | instskip(NEXT) | instid1(VALU_DEP_1)
	v_dual_cndmask_b32 v8, v8, v11 :: v_dual_cndmask_b32 v1, v1, v9
	v_cmp_le_u32_e32 vcc_lo, s18, v8
	s_delay_alu instid0(VALU_DEP_2) | instskip(NEXT) | instid1(VALU_DEP_1)
	v_add_nc_u32_e32 v9, 1, v1
	v_cndmask_b32_e32 v12, v1, v9, vcc_lo
.LBB8_31:                               ;   in Loop: Header=BB8_27 Depth=2
	s_or_b32 exec_lo, exec_lo, s2
	s_delay_alu instid0(VALU_DEP_1) | instskip(SKIP_1) | instid1(VALU_DEP_1)
	v_mul_u64_e32 v[8:9], s[18:19], v[12:13]
                                        ; implicit-def: $vgpr14_vgpr15
	s_mov_b32 s2, exec_lo
	v_sub_nc_u64_e32 v[8:9], v[6:7], v[8:9]
	s_delay_alu instid0(VALU_DEP_1) | instskip(NEXT) | instid1(VALU_DEP_1)
	v_mul_u64_e32 v[8:9], s[22:23], v[8:9]
	v_or_b32_e32 v1, s19, v9
	s_delay_alu instid0(VALU_DEP_1)
	v_cmpx_ne_u64_e32 0, v[0:1]
	s_xor_b32 s3, exec_lo, s2
	s_cbranch_execz .LBB8_33
; %bb.32:                               ;   in Loop: Header=BB8_27 Depth=2
	s_ashr_i32 s36, s19, 31
	v_dual_mov_b32 v17, v0 :: v_dual_ashrrev_i32 v14, 31, v9
	s_mov_b32 s37, s36
	v_mov_b32_e32 v25, v0
	s_add_nc_u64 s[38:39], s[18:19], s[36:37]
	s_delay_alu instid0(VALU_DEP_2) | instskip(SKIP_1) | instid1(SALU_CYCLE_1)
	v_mov_b32_e32 v15, v14
	s_xor_b64 s[38:39], s[38:39], s[36:37]
	s_cvt_f32_u32 s2, s38
	s_cvt_f32_u32 s14, s39
	s_sub_nc_u64 s[42:43], 0, s[38:39]
	v_add_nc_u64_e32 v[8:9], v[8:9], v[14:15]
	v_mov_b32_e32 v21, v0
	s_fmamk_f32 s2, s14, 0x4f800000, s2
	s_delay_alu instid0(SALU_CYCLE_3) | instskip(NEXT) | instid1(VALU_DEP_2)
	v_s_rcp_f32 s2, s2
	v_xor_b32_e32 v16, v8, v14
	s_delay_alu instid0(VALU_DEP_3) | instskip(SKIP_1) | instid1(TRANS32_DEP_1)
	v_xor_b32_e32 v20, v9, v14
	v_xor_b32_e32 v14, s36, v14
	s_mul_f32 s2, s2, 0x5f7ffffc
	s_delay_alu instid0(SALU_CYCLE_3) | instskip(NEXT) | instid1(SALU_CYCLE_3)
	s_mul_f32 s14, s2, 0x2f800000
	s_trunc_f32 s14, s14
	s_delay_alu instid0(SALU_CYCLE_3) | instskip(SKIP_1) | instid1(SALU_CYCLE_2)
	s_fmamk_f32 s2, s14, 0xcf800000, s2
	s_cvt_u32_f32 s41, s14
	s_cvt_u32_f32 s40, s2
	s_delay_alu instid0(SALU_CYCLE_3) | instskip(NEXT) | instid1(SALU_CYCLE_1)
	s_mul_u64 s[44:45], s[42:43], s[40:41]
	s_mul_hi_u32 s47, s40, s45
	s_mul_i32 s46, s40, s45
	s_mul_hi_u32 s14, s40, s44
	s_mul_i32 s37, s41, s44
	s_add_nc_u64 s[46:47], s[14:15], s[46:47]
	s_mul_hi_u32 s2, s41, s44
	s_mul_hi_u32 s48, s41, s45
	s_add_co_u32 s14, s46, s37
	s_add_co_ci_u32 s14, s47, s2
	s_mul_i32 s44, s41, s45
	s_add_co_ci_u32 s45, s48, 0
	s_delay_alu instid0(SALU_CYCLE_1) | instskip(NEXT) | instid1(SALU_CYCLE_1)
	s_add_nc_u64 s[44:45], s[14:15], s[44:45]
	s_add_co_u32 s40, s40, s44
	s_cselect_b32 s2, -1, 0
	s_delay_alu instid0(SALU_CYCLE_1) | instskip(SKIP_1) | instid1(SALU_CYCLE_1)
	s_cmp_lg_u32 s2, 0
	s_add_co_ci_u32 s41, s41, s45
	s_mul_u64 s[42:43], s[42:43], s[40:41]
	s_delay_alu instid0(SALU_CYCLE_1)
	s_mul_hi_u32 s45, s40, s43
	s_mul_i32 s44, s40, s43
	s_mul_hi_u32 s14, s40, s42
	s_mul_i32 s37, s41, s42
	s_add_nc_u64 s[44:45], s[14:15], s[44:45]
	s_mul_hi_u32 s2, s41, s42
	s_mul_hi_u32 s46, s41, s43
	s_add_co_u32 s14, s44, s37
	s_add_co_ci_u32 s14, s45, s2
	s_mul_i32 s42, s41, s43
	s_add_co_ci_u32 s43, s46, 0
	s_delay_alu instid0(SALU_CYCLE_1) | instskip(NEXT) | instid1(SALU_CYCLE_1)
	s_add_nc_u64 s[42:43], s[14:15], s[42:43]
	s_add_co_u32 s2, s40, s42
	s_cselect_b32 s14, -1, 0
	v_mul_hi_u32 v24, v16, s2
	s_cmp_lg_u32 s14, 0
	s_add_co_ci_u32 s14, s41, s43
	s_and_b64 s[40:41], s[2:3], s[24:25]
	v_mul_u64_e32 v[18:19], s[14:15], v[16:17]
	v_mul_u64_e32 v[8:9], s[40:41], v[20:21]
	;; [unrolled: 1-line block ×3, first 2 shown]
	s_delay_alu instid0(VALU_DEP_3) | instskip(NEXT) | instid1(VALU_DEP_1)
	v_add_nc_u64_e32 v[18:19], v[24:25], v[18:19]
	v_add_co_u32 v1, vcc_lo, v18, v8
	s_delay_alu instid0(VALU_DEP_2) | instskip(NEXT) | instid1(VALU_DEP_4)
	v_add_co_ci_u32_e32 v24, vcc_lo, v19, v9, vcc_lo
	v_add_co_ci_u32_e32 v23, vcc_lo, 0, v23, vcc_lo
	s_delay_alu instid0(VALU_DEP_1) | instskip(NEXT) | instid1(VALU_DEP_1)
	v_add_nc_u64_e32 v[8:9], v[24:25], v[22:23]
	v_mul_u64_e32 v[18:19], s[38:39], v[8:9]
	s_delay_alu instid0(VALU_DEP_1) | instskip(NEXT) | instid1(VALU_DEP_2)
	v_sub_nc_u32_e32 v1, v20, v19
	v_sub_co_u32 v11, vcc_lo, v16, v18
	s_delay_alu instid0(VALU_DEP_1) | instskip(NEXT) | instid1(VALU_DEP_3)
	v_sub_co_ci_u32_e64 v15, null, v20, v19, vcc_lo
	v_subrev_co_ci_u32_e64 v1, null, s39, v1, vcc_lo
	s_delay_alu instid0(VALU_DEP_3) | instskip(SKIP_1) | instid1(VALU_DEP_3)
	v_sub_co_u32 v13, s2, v11, s38
	v_add_nc_u64_e32 v[18:19], 1, v[8:9]
	v_subrev_co_ci_u32_e64 v1, null, 0, v1, s2
	s_delay_alu instid0(VALU_DEP_3) | instskip(SKIP_1) | instid1(VALU_DEP_3)
	v_cmp_le_u32_e32 vcc_lo, s38, v13
	v_cndmask_b32_e64 v13, 0, -1, vcc_lo
	v_cmp_le_u32_e32 vcc_lo, s39, v1
	v_cndmask_b32_e64 v16, 0, -1, vcc_lo
	;; [unrolled: 2-line block ×4, first 2 shown]
	v_cmp_eq_u32_e32 vcc_lo, s39, v1
	v_cndmask_b32_e32 v1, v16, v13, vcc_lo
	v_cmp_eq_u32_e32 vcc_lo, s39, v15
	v_add_nc_u64_e32 v[16:17], 2, v[8:9]
	v_dual_mov_b32 v15, v14 :: v_dual_cndmask_b32 v11, v20, v11, vcc_lo
	s_delay_alu instid0(VALU_DEP_4) | instskip(NEXT) | instid1(VALU_DEP_2)
	v_cmp_ne_u32_e32 vcc_lo, 0, v1
	v_cmp_ne_u32_e64 s2, 0, v11
	s_delay_alu instid0(VALU_DEP_4) | instskip(NEXT) | instid1(VALU_DEP_1)
	v_dual_cndmask_b32 v1, v19, v17, vcc_lo :: v_dual_cndmask_b32 v11, v18, v16, vcc_lo
	v_dual_cndmask_b32 v1, v9, v1, s2 :: v_dual_cndmask_b32 v8, v8, v11, s2
	s_delay_alu instid0(VALU_DEP_1) | instskip(NEXT) | instid1(VALU_DEP_2)
	v_xor_b32_e32 v9, v1, v14
	v_xor_b32_e32 v8, v8, v14
	s_delay_alu instid0(VALU_DEP_1)
	v_sub_nc_u64_e32 v[14:15], v[8:9], v[14:15]
                                        ; implicit-def: $vgpr8_vgpr9
.LBB8_33:                               ;   in Loop: Header=BB8_27 Depth=2
	s_and_not1_saveexec_b32 s2, s3
	s_cbranch_execz .LBB8_35
; %bb.34:                               ;   in Loop: Header=BB8_27 Depth=2
	v_rcp_iflag_f32_e32 v1, v10
	s_sub_co_i32 s3, 0, s18
	v_nop
	s_delay_alu instid0(TRANS32_DEP_1) | instskip(NEXT) | instid1(VALU_DEP_1)
	v_mul_f32_e32 v1, 0x4f7ffffe, v1
	v_cvt_u32_f32_e32 v1, v1
	s_delay_alu instid0(VALU_DEP_1) | instskip(NEXT) | instid1(VALU_DEP_1)
	v_mul_lo_u32 v9, s3, v1
	v_mul_hi_u32 v9, v1, v9
	s_delay_alu instid0(VALU_DEP_1) | instskip(NEXT) | instid1(VALU_DEP_1)
	v_add_nc_u32_e32 v1, v1, v9
	v_mul_hi_u32 v1, v8, v1
	s_delay_alu instid0(VALU_DEP_1) | instskip(NEXT) | instid1(VALU_DEP_1)
	v_mul_lo_u32 v9, v1, s18
	v_sub_nc_u32_e32 v8, v8, v9
	v_add_nc_u32_e32 v9, 1, v1
	s_delay_alu instid0(VALU_DEP_2) | instskip(SKIP_1) | instid1(VALU_DEP_2)
	v_subrev_nc_u32_e32 v11, s18, v8
	v_cmp_le_u32_e32 vcc_lo, s18, v8
	v_dual_cndmask_b32 v8, v8, v11 :: v_dual_cndmask_b32 v1, v1, v9
	s_delay_alu instid0(VALU_DEP_1) | instskip(NEXT) | instid1(VALU_DEP_2)
	v_cmp_le_u32_e32 vcc_lo, s18, v8
	v_add_nc_u32_e32 v9, 1, v1
	s_delay_alu instid0(VALU_DEP_1)
	v_cndmask_b32_e32 v14, v1, v9, vcc_lo
.LBB8_35:                               ;   in Loop: Header=BB8_27 Depth=2
	s_or_b32 exec_lo, exec_lo, s2
	v_add_nc_u32_e32 v1, 1, v6
                                        ; implicit-def: $vgpr16_vgpr17
	s_mov_b32 s2, exec_lo
	s_delay_alu instid0(VALU_DEP_1) | instskip(NEXT) | instid1(VALU_DEP_1)
	v_mad_nc_u64_u32 v[8:9], v1, s22, -1
	v_mad_u32 v9, v1, s23, v9
	s_delay_alu instid0(VALU_DEP_1) | instskip(NEXT) | instid1(VALU_DEP_1)
	v_or_b32_e32 v1, s19, v9
	v_cmpx_ne_u64_e32 0, v[0:1]
	s_xor_b32 s3, exec_lo, s2
	s_cbranch_execnz .LBB8_38
; %bb.36:                               ;   in Loop: Header=BB8_27 Depth=2
	s_and_not1_saveexec_b32 s2, s3
	s_cbranch_execnz .LBB8_39
.LBB8_37:                               ;   in Loop: Header=BB8_27 Depth=2
	s_or_b32 exec_lo, exec_lo, s2
	s_delay_alu instid0(SALU_CYCLE_1)
	s_and_not1_b32 vcc_lo, exec_lo, s50
	s_cbranch_vccnz .LBB8_26
	s_branch .LBB8_40
.LBB8_38:                               ;   in Loop: Header=BB8_27 Depth=2
	s_ashr_i32 s36, s19, 31
	v_dual_mov_b32 v17, v0 :: v_dual_ashrrev_i32 v10, 31, v9
	s_mov_b32 s37, s36
	v_mov_b32_e32 v25, v0
	s_add_nc_u64 s[38:39], s[18:19], s[36:37]
	s_delay_alu instid0(VALU_DEP_2) | instskip(SKIP_1) | instid1(SALU_CYCLE_1)
	v_mov_b32_e32 v11, v10
	s_xor_b64 s[38:39], s[38:39], s[36:37]
	s_cvt_f32_u32 s2, s38
	s_cvt_f32_u32 s14, s39
	s_sub_nc_u64 s[42:43], 0, s[38:39]
	v_add_nc_u64_e32 v[8:9], v[8:9], v[10:11]
	v_mov_b32_e32 v21, v0
	s_fmamk_f32 s2, s14, 0x4f800000, s2
	s_delay_alu instid0(SALU_CYCLE_3) | instskip(NEXT) | instid1(VALU_DEP_2)
	v_s_rcp_f32 s2, s2
	v_xor_b32_e32 v16, v8, v10
	s_delay_alu instid0(VALU_DEP_3) | instskip(SKIP_1) | instid1(TRANS32_DEP_1)
	v_xor_b32_e32 v20, v9, v10
	v_xor_b32_e32 v10, s36, v10
	s_mul_f32 s2, s2, 0x5f7ffffc
	s_delay_alu instid0(SALU_CYCLE_3) | instskip(NEXT) | instid1(SALU_CYCLE_3)
	s_mul_f32 s14, s2, 0x2f800000
	s_trunc_f32 s14, s14
	s_delay_alu instid0(SALU_CYCLE_3) | instskip(SKIP_1) | instid1(SALU_CYCLE_2)
	s_fmamk_f32 s2, s14, 0xcf800000, s2
	s_cvt_u32_f32 s41, s14
	s_cvt_u32_f32 s40, s2
	s_delay_alu instid0(SALU_CYCLE_3) | instskip(NEXT) | instid1(SALU_CYCLE_1)
	s_mul_u64 s[44:45], s[42:43], s[40:41]
	s_mul_hi_u32 s47, s40, s45
	s_mul_i32 s46, s40, s45
	s_mul_hi_u32 s14, s40, s44
	s_mul_i32 s37, s41, s44
	s_add_nc_u64 s[46:47], s[14:15], s[46:47]
	s_mul_hi_u32 s2, s41, s44
	s_mul_hi_u32 s48, s41, s45
	s_add_co_u32 s14, s46, s37
	s_add_co_ci_u32 s14, s47, s2
	s_mul_i32 s44, s41, s45
	s_add_co_ci_u32 s45, s48, 0
	s_delay_alu instid0(SALU_CYCLE_1) | instskip(NEXT) | instid1(SALU_CYCLE_1)
	s_add_nc_u64 s[44:45], s[14:15], s[44:45]
	s_add_co_u32 s40, s40, s44
	s_cselect_b32 s2, -1, 0
	s_delay_alu instid0(SALU_CYCLE_1) | instskip(SKIP_1) | instid1(SALU_CYCLE_1)
	s_cmp_lg_u32 s2, 0
	s_add_co_ci_u32 s41, s41, s45
	s_mul_u64 s[42:43], s[42:43], s[40:41]
	s_delay_alu instid0(SALU_CYCLE_1)
	s_mul_hi_u32 s45, s40, s43
	s_mul_i32 s44, s40, s43
	s_mul_hi_u32 s14, s40, s42
	s_mul_i32 s37, s41, s42
	s_add_nc_u64 s[44:45], s[14:15], s[44:45]
	s_mul_hi_u32 s2, s41, s42
	s_mul_hi_u32 s46, s41, s43
	s_add_co_u32 s14, s44, s37
	s_add_co_ci_u32 s14, s45, s2
	s_mul_i32 s42, s41, s43
	s_add_co_ci_u32 s43, s46, 0
	s_delay_alu instid0(SALU_CYCLE_1) | instskip(NEXT) | instid1(SALU_CYCLE_1)
	s_add_nc_u64 s[42:43], s[14:15], s[42:43]
	s_add_co_u32 s2, s40, s42
	s_cselect_b32 s14, -1, 0
	v_mul_hi_u32 v24, v16, s2
	s_cmp_lg_u32 s14, 0
	s_add_co_ci_u32 s14, s41, s43
	s_and_b64 s[40:41], s[2:3], s[24:25]
	v_mul_u64_e32 v[18:19], s[14:15], v[16:17]
	v_mul_u64_e32 v[8:9], s[40:41], v[20:21]
	;; [unrolled: 1-line block ×3, first 2 shown]
	s_delay_alu instid0(VALU_DEP_3) | instskip(NEXT) | instid1(VALU_DEP_1)
	v_add_nc_u64_e32 v[18:19], v[24:25], v[18:19]
	v_add_co_u32 v1, vcc_lo, v18, v8
	s_delay_alu instid0(VALU_DEP_2) | instskip(NEXT) | instid1(VALU_DEP_4)
	v_add_co_ci_u32_e32 v24, vcc_lo, v19, v9, vcc_lo
	v_add_co_ci_u32_e32 v23, vcc_lo, 0, v23, vcc_lo
	s_delay_alu instid0(VALU_DEP_1) | instskip(NEXT) | instid1(VALU_DEP_1)
	v_add_nc_u64_e32 v[8:9], v[24:25], v[22:23]
	v_mul_u64_e32 v[18:19], s[38:39], v[8:9]
	s_delay_alu instid0(VALU_DEP_1) | instskip(NEXT) | instid1(VALU_DEP_2)
	v_sub_nc_u32_e32 v1, v20, v19
	v_sub_co_u32 v11, vcc_lo, v16, v18
	s_delay_alu instid0(VALU_DEP_1) | instskip(NEXT) | instid1(VALU_DEP_3)
	v_sub_co_ci_u32_e64 v15, null, v20, v19, vcc_lo
	v_subrev_co_ci_u32_e64 v1, null, s39, v1, vcc_lo
	s_delay_alu instid0(VALU_DEP_3) | instskip(SKIP_1) | instid1(VALU_DEP_3)
	v_sub_co_u32 v13, s2, v11, s38
	v_add_nc_u64_e32 v[18:19], 1, v[8:9]
	v_subrev_co_ci_u32_e64 v1, null, 0, v1, s2
	s_delay_alu instid0(VALU_DEP_3) | instskip(SKIP_1) | instid1(VALU_DEP_3)
	v_cmp_le_u32_e32 vcc_lo, s38, v13
	v_cndmask_b32_e64 v13, 0, -1, vcc_lo
	v_cmp_le_u32_e32 vcc_lo, s39, v1
	v_cndmask_b32_e64 v16, 0, -1, vcc_lo
	;; [unrolled: 2-line block ×4, first 2 shown]
	v_cmp_eq_u32_e32 vcc_lo, s39, v1
	v_cndmask_b32_e32 v1, v16, v13, vcc_lo
	v_cmp_eq_u32_e32 vcc_lo, s39, v15
	v_add_nc_u64_e32 v[16:17], 2, v[8:9]
	v_cndmask_b32_e32 v11, v20, v11, vcc_lo
	s_delay_alu instid0(VALU_DEP_4) | instskip(NEXT) | instid1(VALU_DEP_2)
	v_cmp_ne_u32_e32 vcc_lo, 0, v1
	v_cmp_ne_u32_e64 s2, 0, v11
	s_delay_alu instid0(VALU_DEP_4) | instskip(NEXT) | instid1(VALU_DEP_1)
	v_dual_cndmask_b32 v1, v19, v17, vcc_lo :: v_dual_cndmask_b32 v11, v18, v16, vcc_lo
	v_dual_cndmask_b32 v1, v9, v1, s2 :: v_dual_cndmask_b32 v8, v8, v11, s2
	s_delay_alu instid0(VALU_DEP_1) | instskip(NEXT) | instid1(VALU_DEP_2)
	v_dual_mov_b32 v11, v10 :: v_dual_bitop2_b32 v9, v1, v10 bitop3:0x14
	v_xor_b32_e32 v8, v8, v10
	s_delay_alu instid0(VALU_DEP_1)
	v_sub_nc_u64_e32 v[16:17], v[8:9], v[10:11]
                                        ; implicit-def: $vgpr10
                                        ; implicit-def: $vgpr8_vgpr9
	s_and_not1_saveexec_b32 s2, s3
	s_cbranch_execz .LBB8_37
.LBB8_39:                               ;   in Loop: Header=BB8_27 Depth=2
	v_rcp_iflag_f32_e32 v1, v10
	s_sub_co_i32 s3, 0, s18
	v_nop
	s_delay_alu instid0(TRANS32_DEP_1) | instskip(NEXT) | instid1(VALU_DEP_1)
	v_mul_f32_e32 v1, 0x4f7ffffe, v1
	v_cvt_u32_f32_e32 v1, v1
	s_delay_alu instid0(VALU_DEP_1) | instskip(NEXT) | instid1(VALU_DEP_1)
	v_mul_lo_u32 v9, s3, v1
	v_mul_hi_u32 v9, v1, v9
	s_delay_alu instid0(VALU_DEP_1) | instskip(NEXT) | instid1(VALU_DEP_1)
	v_add_nc_u32_e32 v1, v1, v9
	v_mul_hi_u32 v1, v8, v1
	s_delay_alu instid0(VALU_DEP_1) | instskip(NEXT) | instid1(VALU_DEP_1)
	v_mul_lo_u32 v9, v1, s18
	v_sub_nc_u32_e32 v8, v8, v9
	v_add_nc_u32_e32 v9, 1, v1
	s_delay_alu instid0(VALU_DEP_2) | instskip(SKIP_1) | instid1(VALU_DEP_2)
	v_subrev_nc_u32_e32 v10, s18, v8
	v_cmp_le_u32_e32 vcc_lo, s18, v8
	v_dual_cndmask_b32 v8, v8, v10 :: v_dual_cndmask_b32 v1, v1, v9
	s_delay_alu instid0(VALU_DEP_1) | instskip(NEXT) | instid1(VALU_DEP_2)
	v_cmp_le_u32_e32 vcc_lo, s18, v8
	v_add_nc_u32_e32 v9, 1, v1
	s_delay_alu instid0(VALU_DEP_1) | instskip(SKIP_1) | instid1(SALU_CYCLE_1)
	v_cndmask_b32_e32 v16, v1, v9, vcc_lo
	s_or_b32 exec_lo, exec_lo, s2
	s_and_not1_b32 vcc_lo, exec_lo, s50
	s_cbranch_vccnz .LBB8_26
.LBB8_40:                               ;   in Loop: Header=BB8_27 Depth=2
	v_mad_u32 v8, v12, s22, v14
	v_add_nc_u32_e32 v40, 1, v16
	s_mov_b64 s[36:37], s[28:29]
	s_mov_b32 s38, s4
	s_delay_alu instid0(VALU_DEP_2) | instskip(NEXT) | instid1(VALU_DEP_2)
	v_ashrrev_i32_e32 v9, 31, v8
	v_cmp_gt_i32_e64 s2, v40, v8
	s_delay_alu instid0(VALU_DEP_2) | instskip(NEXT) | instid1(VALU_DEP_1)
	v_add_nc_u64_e32 v[18:19], 1, v[8:9]
	v_mad_nc_u64_u32 v[10:11], s18, v18, -1
	s_delay_alu instid0(VALU_DEP_1) | instskip(SKIP_2) | instid1(VALU_DEP_2)
	v_mad_u32 v1, s19, v18, v11
	v_add_nc_u32_e32 v11, v38, v12
	v_lshl_add_u64 v[12:13], v[6:7], 3, v[4:5]
	v_mad_u32 v39, s9, v11, v14
	s_delay_alu instid0(VALU_DEP_4)
	v_mad_u32 v11, s18, v19, v1
	s_branch .LBB8_42
.LBB8_41:                               ;   in Loop: Header=BB8_42 Depth=3
	s_or_b32 exec_lo, exec_lo, s39
	s_add_co_i32 s38, s38, 1
	s_add_nc_u64 s[36:37], s[36:37], s[30:31]
	s_cmp_lt_i32 s38, s33
	s_cbranch_scc0 .LBB8_26
.LBB8_42:                               ;   Parent Loop BB8_12 Depth=1
                                        ;     Parent Loop BB8_27 Depth=2
                                        ; =>    This Loop Header: Depth=3
                                        ;         Child Loop BB8_54 Depth 4
                                        ;           Child Loop BB8_69 Depth 5
	s_ashr_i32 s39, s38, 31
	s_delay_alu instid0(SALU_CYCLE_1) | instskip(NEXT) | instid1(SALU_CYCLE_1)
	s_add_nc_u64 s[40:41], s[38:39], 1
	s_mul_u64 s[40:41], s[40:41], s[10:11]
	s_delay_alu instid0(SALU_CYCLE_1) | instskip(NEXT) | instid1(SALU_CYCLE_1)
	s_add_nc_u64 s[42:43], s[40:41], -1
	s_or_b64 s[40:41], s[42:43], s[12:13]
	s_delay_alu instid0(SALU_CYCLE_1) | instskip(NEXT) | instid1(SALU_CYCLE_1)
	s_and_b64 s[40:41], s[40:41], 0xffffffff00000000
	s_cmp_lg_u64 s[40:41], 0
	s_cbranch_scc0 .LBB8_81
; %bb.43:                               ;   in Loop: Header=BB8_42 Depth=3
	s_ashr_i32 s40, s13, 31
	s_delay_alu instid0(SALU_CYCLE_1) | instskip(NEXT) | instid1(SALU_CYCLE_1)
	s_mov_b32 s41, s40
	s_add_nc_u64 s[44:45], s[12:13], s[40:41]
	s_delay_alu instid0(SALU_CYCLE_1) | instskip(NEXT) | instid1(SALU_CYCLE_1)
	s_xor_b64 s[44:45], s[44:45], s[40:41]
	s_cvt_f32_u32 s3, s44
	s_cvt_f32_u32 s14, s45
	s_sub_nc_u64 s[48:49], 0, s[44:45]
	s_delay_alu instid0(SALU_CYCLE_2) | instskip(NEXT) | instid1(SALU_CYCLE_3)
	s_fmamk_f32 s3, s14, 0x4f800000, s3
	v_s_rcp_f32 s3, s3
	s_delay_alu instid0(TRANS32_DEP_1) | instskip(NEXT) | instid1(SALU_CYCLE_3)
	s_mul_f32 s3, s3, 0x5f7ffffc
	s_mul_f32 s14, s3, 0x2f800000
	s_delay_alu instid0(SALU_CYCLE_3) | instskip(NEXT) | instid1(SALU_CYCLE_3)
	s_trunc_f32 s14, s14
	s_fmamk_f32 s3, s14, 0xcf800000, s3
	s_cvt_u32_f32 s47, s14
	s_delay_alu instid0(SALU_CYCLE_2) | instskip(NEXT) | instid1(SALU_CYCLE_3)
	s_cvt_u32_f32 s46, s3
	s_mul_u64 s[56:57], s[48:49], s[46:47]
	s_delay_alu instid0(SALU_CYCLE_1)
	s_mul_hi_u32 s59, s46, s57
	s_mul_i32 s58, s46, s57
	s_mul_hi_u32 s14, s46, s56
	s_mul_i32 s60, s47, s56
	s_add_nc_u64 s[58:59], s[14:15], s[58:59]
	s_mul_hi_u32 s3, s47, s56
	s_mul_hi_u32 s61, s47, s57
	s_add_co_u32 s14, s58, s60
	s_add_co_ci_u32 s14, s59, s3
	s_mul_i32 s56, s47, s57
	s_add_co_ci_u32 s57, s61, 0
	s_delay_alu instid0(SALU_CYCLE_1) | instskip(NEXT) | instid1(SALU_CYCLE_1)
	s_add_nc_u64 s[56:57], s[14:15], s[56:57]
	s_add_co_u32 s46, s46, s56
	s_cselect_b32 s3, -1, 0
	s_delay_alu instid0(SALU_CYCLE_1) | instskip(SKIP_1) | instid1(SALU_CYCLE_1)
	s_cmp_lg_u32 s3, 0
	s_add_co_ci_u32 s47, s47, s57
	s_mul_u64 s[48:49], s[48:49], s[46:47]
	s_delay_alu instid0(SALU_CYCLE_1)
	s_mul_hi_u32 s57, s46, s49
	s_mul_i32 s56, s46, s49
	s_mul_hi_u32 s14, s46, s48
	s_mul_i32 s58, s47, s48
	s_add_nc_u64 s[56:57], s[14:15], s[56:57]
	s_mul_hi_u32 s3, s47, s48
	s_mul_hi_u32 s59, s47, s49
	s_add_co_u32 s14, s56, s58
	s_add_co_ci_u32 s14, s57, s3
	s_mul_i32 s48, s47, s49
	s_add_co_ci_u32 s49, s59, 0
	s_delay_alu instid0(SALU_CYCLE_1) | instskip(NEXT) | instid1(SALU_CYCLE_1)
	s_add_nc_u64 s[48:49], s[14:15], s[48:49]
	s_add_co_u32 s3, s46, s48
	s_cselect_b32 s14, -1, 0
	s_delay_alu instid0(SALU_CYCLE_1) | instskip(SKIP_2) | instid1(SALU_CYCLE_1)
	s_cmp_lg_u32 s14, 0
	s_add_co_ci_u32 s58, s47, s49
	s_ashr_i32 s46, s43, 31
	s_mov_b32 s47, s46
	s_delay_alu instid0(SALU_CYCLE_1) | instskip(NEXT) | instid1(SALU_CYCLE_1)
	s_add_nc_u64 s[48:49], s[42:43], s[46:47]
	s_xor_b64 s[48:49], s[48:49], s[46:47]
	s_delay_alu instid0(SALU_CYCLE_1)
	s_mul_hi_u32 s57, s48, s58
	s_mul_i32 s56, s48, s58
	s_mul_hi_u32 s14, s48, s3
	s_mul_hi_u32 s59, s49, s3
	s_mul_i32 s3, s49, s3
	s_add_nc_u64 s[56:57], s[14:15], s[56:57]
	s_mul_hi_u32 s43, s49, s58
	s_add_co_u32 s3, s56, s3
	s_add_co_ci_u32 s14, s57, s59
	s_mul_i32 s58, s49, s58
	s_add_co_ci_u32 s59, s43, 0
	s_delay_alu instid0(SALU_CYCLE_1) | instskip(NEXT) | instid1(SALU_CYCLE_1)
	s_add_nc_u64 s[56:57], s[14:15], s[58:59]
	s_and_b64 s[58:59], s[56:57], 0xffffffff00000000
	s_delay_alu instid0(SALU_CYCLE_1) | instskip(NEXT) | instid1(SALU_CYCLE_1)
	s_or_b32 s58, s58, s56
	s_mul_u64 s[56:57], s[44:45], s[58:59]
	s_add_nc_u64 s[60:61], s[58:59], 1
	s_sub_co_u32 s3, s48, s56
	s_cselect_b32 s14, -1, 0
	s_sub_co_i32 s43, s49, s57
	s_cmp_lg_u32 s14, 0
	s_add_nc_u64 s[62:63], s[58:59], 2
	s_sub_co_ci_u32 s43, s43, s45
	s_sub_co_u32 s48, s3, s44
	s_cselect_b32 s56, -1, 0
	s_delay_alu instid0(SALU_CYCLE_1) | instskip(SKIP_1) | instid1(SALU_CYCLE_1)
	s_cmp_lg_u32 s56, 0
	s_sub_co_ci_u32 s43, s43, 0
	s_cmp_ge_u32 s43, s45
	s_cselect_b32 s56, -1, 0
	s_cmp_ge_u32 s48, s44
	s_cselect_b32 s48, -1, 0
	s_cmp_eq_u32 s43, s45
	s_cselect_b32 s43, s48, s56
	s_delay_alu instid0(SALU_CYCLE_1) | instskip(SKIP_4) | instid1(SALU_CYCLE_1)
	s_cmp_lg_u32 s43, 0
	s_cselect_b32 s43, s62, s60
	s_cselect_b32 s48, s63, s61
	s_cmp_lg_u32 s14, 0
	s_sub_co_ci_u32 s14, s49, s57
	s_cmp_ge_u32 s14, s45
	s_cselect_b32 s49, -1, 0
	s_cmp_ge_u32 s3, s44
	s_cselect_b32 s3, -1, 0
	s_cmp_eq_u32 s14, s45
	s_cselect_b32 s3, s3, s49
	s_delay_alu instid0(SALU_CYCLE_1) | instskip(SKIP_3) | instid1(SALU_CYCLE_1)
	s_cmp_lg_u32 s3, 0
	s_cselect_b32 s45, s48, s59
	s_cselect_b32 s44, s43, s58
	s_xor_b64 s[40:41], s[46:47], s[40:41]
	s_xor_b64 s[44:45], s[44:45], s[40:41]
	s_delay_alu instid0(SALU_CYCLE_1) | instskip(SKIP_1) | instid1(VALU_DEP_1)
	s_sub_nc_u64 s[40:41], s[44:45], s[40:41]
	v_cvt_f32_u32_e32 v1, s12
	v_rcp_iflag_f32_e32 v1, v1
	s_cbranch_execnz .LBB8_45
.LBB8_44:                               ;   in Loop: Header=BB8_42 Depth=3
	v_nop
	s_delay_alu instid0(TRANS32_DEP_1) | instskip(SKIP_1) | instid1(VALU_DEP_1)
	v_mul_f32_e32 v7, 0x4f7ffffe, v1
	s_sub_co_i32 s14, 0, s12
	v_cvt_u32_f32_e32 v7, v7
	s_delay_alu instid0(VALU_DEP_1) | instskip(SKIP_1) | instid1(SALU_CYCLE_1)
	v_readfirstlane_b32 s3, v7
	s_mul_i32 s14, s14, s3
	s_mul_hi_u32 s14, s3, s14
	s_delay_alu instid0(SALU_CYCLE_1) | instskip(NEXT) | instid1(SALU_CYCLE_1)
	s_add_co_i32 s3, s3, s14
	s_mul_hi_u32 s3, s42, s3
	s_delay_alu instid0(SALU_CYCLE_1) | instskip(SKIP_2) | instid1(SALU_CYCLE_1)
	s_mul_i32 s14, s3, s12
	s_add_co_i32 s40, s3, 1
	s_sub_co_i32 s14, s42, s14
	s_sub_co_i32 s41, s14, s12
	s_cmp_ge_u32 s14, s12
	s_cselect_b32 s3, s40, s3
	s_cselect_b32 s14, s41, s14
	s_add_co_i32 s40, s3, 1
	s_cmp_ge_u32 s14, s12
	s_cselect_b32 s40, s40, s3
.LBB8_45:                               ;   in Loop: Header=BB8_42 Depth=3
	s_or_b64 s[42:43], s[38:39], s[12:13]
	s_delay_alu instid0(SALU_CYCLE_1) | instskip(NEXT) | instid1(SALU_CYCLE_1)
	s_and_b64 s[42:43], s[42:43], 0xffffffff00000000
	s_cmp_lg_u64 s[42:43], 0
	s_cbranch_scc0 .LBB8_82
; %bb.46:                               ;   in Loop: Header=BB8_42 Depth=3
	s_ashr_i32 s42, s13, 31
	s_delay_alu instid0(SALU_CYCLE_1) | instskip(NEXT) | instid1(SALU_CYCLE_1)
	s_mov_b32 s43, s42
	s_add_nc_u64 s[44:45], s[12:13], s[42:43]
	s_delay_alu instid0(SALU_CYCLE_1) | instskip(NEXT) | instid1(SALU_CYCLE_1)
	s_xor_b64 s[44:45], s[44:45], s[42:43]
	s_cvt_f32_u32 s3, s44
	s_cvt_f32_u32 s14, s45
	s_sub_nc_u64 s[48:49], 0, s[44:45]
	s_delay_alu instid0(SALU_CYCLE_2) | instskip(NEXT) | instid1(SALU_CYCLE_3)
	s_fmamk_f32 s3, s14, 0x4f800000, s3
	v_s_rcp_f32 s3, s3
	s_delay_alu instid0(TRANS32_DEP_1) | instskip(NEXT) | instid1(SALU_CYCLE_3)
	s_mul_f32 s3, s3, 0x5f7ffffc
	s_mul_f32 s14, s3, 0x2f800000
	s_delay_alu instid0(SALU_CYCLE_3) | instskip(NEXT) | instid1(SALU_CYCLE_3)
	s_trunc_f32 s14, s14
	s_fmamk_f32 s3, s14, 0xcf800000, s3
	s_cvt_u32_f32 s47, s14
	s_delay_alu instid0(SALU_CYCLE_2) | instskip(NEXT) | instid1(SALU_CYCLE_3)
	s_cvt_u32_f32 s46, s3
	s_mul_u64 s[56:57], s[48:49], s[46:47]
	s_delay_alu instid0(SALU_CYCLE_1)
	s_mul_hi_u32 s59, s46, s57
	s_mul_i32 s58, s46, s57
	s_mul_hi_u32 s14, s46, s56
	s_mul_i32 s41, s47, s56
	s_add_nc_u64 s[58:59], s[14:15], s[58:59]
	s_mul_hi_u32 s3, s47, s56
	s_mul_hi_u32 s60, s47, s57
	s_add_co_u32 s14, s58, s41
	s_add_co_ci_u32 s14, s59, s3
	s_mul_i32 s56, s47, s57
	s_add_co_ci_u32 s57, s60, 0
	s_delay_alu instid0(SALU_CYCLE_1) | instskip(NEXT) | instid1(SALU_CYCLE_1)
	s_add_nc_u64 s[56:57], s[14:15], s[56:57]
	s_add_co_u32 s46, s46, s56
	s_cselect_b32 s3, -1, 0
	s_delay_alu instid0(SALU_CYCLE_1) | instskip(SKIP_1) | instid1(SALU_CYCLE_1)
	s_cmp_lg_u32 s3, 0
	s_add_co_ci_u32 s47, s47, s57
	s_mul_u64 s[48:49], s[48:49], s[46:47]
	s_delay_alu instid0(SALU_CYCLE_1)
	s_mul_hi_u32 s57, s46, s49
	s_mul_i32 s56, s46, s49
	s_mul_hi_u32 s14, s46, s48
	s_mul_i32 s41, s47, s48
	s_add_nc_u64 s[56:57], s[14:15], s[56:57]
	s_mul_hi_u32 s3, s47, s48
	s_mul_hi_u32 s58, s47, s49
	s_add_co_u32 s14, s56, s41
	s_add_co_ci_u32 s14, s57, s3
	s_mul_i32 s48, s47, s49
	s_add_co_ci_u32 s49, s58, 0
	s_delay_alu instid0(SALU_CYCLE_1) | instskip(NEXT) | instid1(SALU_CYCLE_1)
	s_add_nc_u64 s[48:49], s[14:15], s[48:49]
	s_add_co_u32 s3, s46, s48
	s_cselect_b32 s14, -1, 0
	s_delay_alu instid0(SALU_CYCLE_1) | instskip(SKIP_2) | instid1(SALU_CYCLE_1)
	s_cmp_lg_u32 s14, 0
	s_add_co_ci_u32 s41, s47, s49
	s_ashr_i32 s46, s39, 31
	s_mov_b32 s47, s46
	s_delay_alu instid0(SALU_CYCLE_1) | instskip(NEXT) | instid1(SALU_CYCLE_1)
	s_add_nc_u64 s[48:49], s[38:39], s[46:47]
	s_xor_b64 s[48:49], s[48:49], s[46:47]
	s_delay_alu instid0(SALU_CYCLE_1)
	s_mul_hi_u32 s57, s48, s41
	s_mul_i32 s56, s48, s41
	s_mul_hi_u32 s14, s48, s3
	s_mul_hi_u32 s60, s49, s3
	s_mul_i32 s3, s49, s3
	s_add_nc_u64 s[56:57], s[14:15], s[56:57]
	s_mul_hi_u32 s59, s49, s41
	s_add_co_u32 s3, s56, s3
	s_add_co_ci_u32 s14, s57, s60
	s_mul_i32 s58, s49, s41
	s_add_co_ci_u32 s59, s59, 0
	s_delay_alu instid0(SALU_CYCLE_1) | instskip(NEXT) | instid1(SALU_CYCLE_1)
	s_add_nc_u64 s[56:57], s[14:15], s[58:59]
	s_and_b64 s[58:59], s[56:57], 0xffffffff00000000
	s_delay_alu instid0(SALU_CYCLE_1) | instskip(NEXT) | instid1(SALU_CYCLE_1)
	s_or_b32 s58, s58, s56
	s_mul_u64 s[56:57], s[44:45], s[58:59]
	s_add_nc_u64 s[60:61], s[58:59], 1
	s_sub_co_u32 s3, s48, s56
	s_cselect_b32 s14, -1, 0
	s_sub_co_i32 s41, s49, s57
	s_cmp_lg_u32 s14, 0
	s_add_nc_u64 s[62:63], s[58:59], 2
	s_sub_co_ci_u32 s41, s41, s45
	s_sub_co_u32 s48, s3, s44
	s_cselect_b32 s56, -1, 0
	s_delay_alu instid0(SALU_CYCLE_1) | instskip(SKIP_1) | instid1(SALU_CYCLE_1)
	s_cmp_lg_u32 s56, 0
	s_sub_co_ci_u32 s41, s41, 0
	s_cmp_ge_u32 s41, s45
	s_cselect_b32 s56, -1, 0
	s_cmp_ge_u32 s48, s44
	s_cselect_b32 s48, -1, 0
	s_cmp_eq_u32 s41, s45
	s_cselect_b32 s41, s48, s56
	s_delay_alu instid0(SALU_CYCLE_1) | instskip(SKIP_4) | instid1(SALU_CYCLE_1)
	s_cmp_lg_u32 s41, 0
	s_cselect_b32 s41, s62, s60
	s_cselect_b32 s48, s63, s61
	s_cmp_lg_u32 s14, 0
	s_sub_co_ci_u32 s14, s49, s57
	s_cmp_ge_u32 s14, s45
	s_cselect_b32 s49, -1, 0
	s_cmp_ge_u32 s3, s44
	s_cselect_b32 s3, -1, 0
	s_cmp_eq_u32 s14, s45
	s_cselect_b32 s3, s3, s49
	s_delay_alu instid0(SALU_CYCLE_1) | instskip(SKIP_3) | instid1(SALU_CYCLE_1)
	s_cmp_lg_u32 s3, 0
	s_cselect_b32 s45, s48, s59
	s_cselect_b32 s44, s41, s58
	s_xor_b64 s[42:43], s[46:47], s[42:43]
	s_xor_b64 s[44:45], s[44:45], s[42:43]
	s_delay_alu instid0(SALU_CYCLE_1)
	s_sub_nc_u64 s[42:43], s[44:45], s[42:43]
	s_cbranch_execnz .LBB8_48
.LBB8_47:                               ;   in Loop: Header=BB8_42 Depth=3
	v_nop
	v_mul_f32_e32 v7, 0x4f7ffffe, v1
	s_sub_co_i32 s14, 0, s12
	s_delay_alu instid0(VALU_DEP_1) | instskip(NEXT) | instid1(VALU_DEP_1)
	v_cvt_u32_f32_e32 v7, v7
	v_readfirstlane_b32 s3, v7
	s_mul_i32 s14, s14, s3
	s_delay_alu instid0(SALU_CYCLE_1) | instskip(NEXT) | instid1(SALU_CYCLE_1)
	s_mul_hi_u32 s14, s3, s14
	s_add_co_i32 s3, s3, s14
	s_delay_alu instid0(SALU_CYCLE_1) | instskip(NEXT) | instid1(SALU_CYCLE_1)
	s_mul_hi_u32 s3, s38, s3
	s_mul_i32 s14, s3, s12
	s_add_co_i32 s41, s3, 1
	s_sub_co_i32 s14, s38, s14
	s_delay_alu instid0(SALU_CYCLE_1)
	s_sub_co_i32 s42, s14, s12
	s_cmp_ge_u32 s14, s12
	s_cselect_b32 s3, s41, s3
	s_cselect_b32 s14, s42, s14
	s_add_co_i32 s41, s3, 1
	s_cmp_ge_u32 s14, s12
	s_cselect_b32 s14, s41, s3
	s_delay_alu instid0(SALU_CYCLE_1)
	s_mov_b64 s[42:43], s[14:15]
.LBB8_48:                               ;   in Loop: Header=BB8_42 Depth=3
	s_delay_alu instid0(SALU_CYCLE_1) | instskip(NEXT) | instid1(SALU_CYCLE_1)
	s_mul_u64 s[44:45], s[42:43], s[12:13]
	s_sub_nc_u64 s[44:45], s[38:39], s[44:45]
	s_delay_alu instid0(SALU_CYCLE_1) | instskip(NEXT) | instid1(SALU_CYCLE_1)
	s_mul_u64 s[44:45], s[44:45], s[10:11]
	s_or_b64 s[46:47], s[44:45], s[12:13]
	s_delay_alu instid0(SALU_CYCLE_1) | instskip(NEXT) | instid1(SALU_CYCLE_1)
	s_and_b64 s[46:47], s[46:47], 0xffffffff00000000
	s_cmp_lg_u64 s[46:47], 0
	s_cbranch_scc0 .LBB8_83
; %bb.49:                               ;   in Loop: Header=BB8_42 Depth=3
	s_ashr_i32 s46, s13, 31
	s_delay_alu instid0(SALU_CYCLE_1) | instskip(NEXT) | instid1(SALU_CYCLE_1)
	s_mov_b32 s47, s46
	s_add_nc_u64 s[48:49], s[12:13], s[46:47]
	s_delay_alu instid0(SALU_CYCLE_1) | instskip(NEXT) | instid1(SALU_CYCLE_1)
	s_xor_b64 s[48:49], s[48:49], s[46:47]
	s_cvt_f32_u32 s3, s48
	s_cvt_f32_u32 s14, s49
	s_sub_nc_u64 s[58:59], 0, s[48:49]
	s_delay_alu instid0(SALU_CYCLE_2) | instskip(NEXT) | instid1(SALU_CYCLE_3)
	s_fmamk_f32 s3, s14, 0x4f800000, s3
	v_s_rcp_f32 s3, s3
	s_delay_alu instid0(TRANS32_DEP_1) | instskip(NEXT) | instid1(SALU_CYCLE_3)
	s_mul_f32 s3, s3, 0x5f7ffffc
	s_mul_f32 s14, s3, 0x2f800000
	s_delay_alu instid0(SALU_CYCLE_3) | instskip(NEXT) | instid1(SALU_CYCLE_3)
	s_trunc_f32 s14, s14
	s_fmamk_f32 s3, s14, 0xcf800000, s3
	s_cvt_u32_f32 s57, s14
	s_delay_alu instid0(SALU_CYCLE_2) | instskip(NEXT) | instid1(SALU_CYCLE_3)
	s_cvt_u32_f32 s56, s3
	s_mul_u64 s[60:61], s[58:59], s[56:57]
	s_delay_alu instid0(SALU_CYCLE_1)
	s_mul_hi_u32 s63, s56, s61
	s_mul_i32 s62, s56, s61
	s_mul_hi_u32 s14, s56, s60
	s_mul_i32 s39, s57, s60
	s_add_nc_u64 s[62:63], s[14:15], s[62:63]
	s_mul_hi_u32 s3, s57, s60
	s_mul_hi_u32 s41, s57, s61
	s_add_co_u32 s14, s62, s39
	s_add_co_ci_u32 s14, s63, s3
	s_mul_i32 s60, s57, s61
	s_add_co_ci_u32 s61, s41, 0
	s_delay_alu instid0(SALU_CYCLE_1) | instskip(NEXT) | instid1(SALU_CYCLE_1)
	s_add_nc_u64 s[60:61], s[14:15], s[60:61]
	s_add_co_u32 s56, s56, s60
	s_cselect_b32 s3, -1, 0
	s_delay_alu instid0(SALU_CYCLE_1) | instskip(SKIP_1) | instid1(SALU_CYCLE_1)
	s_cmp_lg_u32 s3, 0
	s_add_co_ci_u32 s57, s57, s61
	s_mul_u64 s[58:59], s[58:59], s[56:57]
	s_delay_alu instid0(SALU_CYCLE_1)
	s_mul_hi_u32 s61, s56, s59
	s_mul_i32 s60, s56, s59
	s_mul_hi_u32 s14, s56, s58
	s_mul_i32 s39, s57, s58
	s_add_nc_u64 s[60:61], s[14:15], s[60:61]
	s_mul_hi_u32 s3, s57, s58
	s_mul_hi_u32 s41, s57, s59
	s_add_co_u32 s14, s60, s39
	s_add_co_ci_u32 s14, s61, s3
	s_mul_i32 s58, s57, s59
	s_add_co_ci_u32 s59, s41, 0
	s_delay_alu instid0(SALU_CYCLE_1) | instskip(NEXT) | instid1(SALU_CYCLE_1)
	s_add_nc_u64 s[58:59], s[14:15], s[58:59]
	s_add_co_u32 s3, s56, s58
	s_cselect_b32 s14, -1, 0
	s_delay_alu instid0(SALU_CYCLE_1) | instskip(SKIP_2) | instid1(SALU_CYCLE_1)
	s_cmp_lg_u32 s14, 0
	s_add_co_ci_u32 s39, s57, s59
	s_ashr_i32 s56, s45, 31
	s_mov_b32 s57, s56
	s_delay_alu instid0(SALU_CYCLE_1) | instskip(NEXT) | instid1(SALU_CYCLE_1)
	s_add_nc_u64 s[58:59], s[44:45], s[56:57]
	s_xor_b64 s[58:59], s[58:59], s[56:57]
	s_delay_alu instid0(SALU_CYCLE_1)
	s_mul_hi_u32 s61, s58, s39
	s_mul_i32 s60, s58, s39
	s_mul_hi_u32 s14, s58, s3
	s_mul_hi_u32 s43, s59, s3
	s_mul_i32 s3, s59, s3
	s_add_nc_u64 s[60:61], s[14:15], s[60:61]
	s_mul_hi_u32 s41, s59, s39
	s_add_co_u32 s3, s60, s3
	s_add_co_ci_u32 s14, s61, s43
	s_mul_i32 s62, s59, s39
	s_add_co_ci_u32 s63, s41, 0
	s_delay_alu instid0(SALU_CYCLE_1) | instskip(NEXT) | instid1(SALU_CYCLE_1)
	s_add_nc_u64 s[60:61], s[14:15], s[62:63]
	s_and_b64 s[62:63], s[60:61], 0xffffffff00000000
	s_delay_alu instid0(SALU_CYCLE_1) | instskip(NEXT) | instid1(SALU_CYCLE_1)
	s_or_b32 s62, s62, s60
	s_mul_u64 s[60:61], s[48:49], s[62:63]
	s_add_nc_u64 s[64:65], s[62:63], 1
	s_sub_co_u32 s3, s58, s60
	s_cselect_b32 s14, -1, 0
	s_sub_co_i32 s39, s59, s61
	s_cmp_lg_u32 s14, 0
	s_add_nc_u64 s[66:67], s[62:63], 2
	s_sub_co_ci_u32 s39, s39, s49
	s_sub_co_u32 s41, s3, s48
	s_cselect_b32 s43, -1, 0
	s_delay_alu instid0(SALU_CYCLE_1) | instskip(SKIP_1) | instid1(SALU_CYCLE_1)
	s_cmp_lg_u32 s43, 0
	s_sub_co_ci_u32 s39, s39, 0
	s_cmp_ge_u32 s39, s49
	s_cselect_b32 s43, -1, 0
	s_cmp_ge_u32 s41, s48
	s_cselect_b32 s41, -1, 0
	s_cmp_eq_u32 s39, s49
	s_cselect_b32 s39, s41, s43
	s_delay_alu instid0(SALU_CYCLE_1) | instskip(SKIP_4) | instid1(SALU_CYCLE_1)
	s_cmp_lg_u32 s39, 0
	s_cselect_b32 s39, s66, s64
	s_cselect_b32 s41, s67, s65
	s_cmp_lg_u32 s14, 0
	s_sub_co_ci_u32 s14, s59, s61
	s_cmp_ge_u32 s14, s49
	s_cselect_b32 s43, -1, 0
	s_cmp_ge_u32 s3, s48
	s_cselect_b32 s3, -1, 0
	s_cmp_eq_u32 s14, s49
	s_cselect_b32 s3, s3, s43
	s_delay_alu instid0(SALU_CYCLE_1) | instskip(SKIP_3) | instid1(SALU_CYCLE_1)
	s_cmp_lg_u32 s3, 0
	s_cselect_b32 s49, s41, s63
	s_cselect_b32 s48, s39, s62
	s_xor_b64 s[46:47], s[56:57], s[46:47]
	s_xor_b64 s[48:49], s[48:49], s[46:47]
	s_delay_alu instid0(SALU_CYCLE_1)
	s_sub_nc_u64 s[46:47], s[48:49], s[46:47]
	s_cbranch_execnz .LBB8_51
.LBB8_50:                               ;   in Loop: Header=BB8_42 Depth=3
	v_mul_f32_e32 v1, 0x4f7ffffe, v1
	s_sub_co_i32 s14, 0, s12
	s_delay_alu instid0(VALU_DEP_1) | instskip(NEXT) | instid1(VALU_DEP_1)
	v_cvt_u32_f32_e32 v1, v1
	v_readfirstlane_b32 s3, v1
	s_mul_i32 s14, s14, s3
	s_delay_alu instid0(SALU_CYCLE_1) | instskip(NEXT) | instid1(SALU_CYCLE_1)
	s_mul_hi_u32 s14, s3, s14
	s_add_co_i32 s3, s3, s14
	s_delay_alu instid0(SALU_CYCLE_1) | instskip(NEXT) | instid1(SALU_CYCLE_1)
	s_mul_hi_u32 s3, s44, s3
	s_mul_i32 s14, s3, s12
	s_add_co_i32 s39, s3, 1
	s_sub_co_i32 s14, s44, s14
	s_delay_alu instid0(SALU_CYCLE_1)
	s_sub_co_i32 s41, s14, s12
	s_cmp_ge_u32 s14, s12
	s_cselect_b32 s3, s39, s3
	s_cselect_b32 s14, s41, s14
	s_add_co_i32 s39, s3, 1
	s_cmp_ge_u32 s14, s12
	s_cselect_b32 s46, s39, s3
.LBB8_51:                               ;   in Loop: Header=BB8_42 Depth=3
	s_and_saveexec_b32 s39, s1
	s_cbranch_execz .LBB8_41
; %bb.52:                               ;   in Loop: Header=BB8_42 Depth=3
	s_mul_i32 s3, s42, s10
	v_dual_mov_b32 v14, v39 :: v_dual_mov_b32 v16, v3
	s_add_co_i32 s3, s3, s46
	s_mov_b32 s45, 0
	s_sub_co_i32 s44, s40, s3
	s_delay_alu instid0(SALU_CYCLE_1)
	s_add_co_i32 s44, s44, 1
	s_branch .LBB8_54
.LBB8_53:                               ;   in Loop: Header=BB8_54 Depth=4
	s_or_b32 exec_lo, exec_lo, s46
	v_dual_add_nc_u32 v16, 1, v16 :: v_dual_add_nc_u32 v14, s9, v14
	s_delay_alu instid0(VALU_DEP_1) | instskip(SKIP_1) | instid1(SALU_CYCLE_1)
	v_cmp_ge_i32_e32 vcc_lo, v16, v37
	s_or_b32 s45, vcc_lo, s45
	s_and_not1_b32 exec_lo, exec_lo, s45
	s_cbranch_execz .LBB8_41
.LBB8_54:                               ;   Parent Loop BB8_12 Depth=1
                                        ;     Parent Loop BB8_27 Depth=2
                                        ;       Parent Loop BB8_42 Depth=3
                                        ; =>      This Loop Header: Depth=4
                                        ;           Child Loop BB8_69 Depth 5
	s_and_saveexec_b32 s46, s2
	s_cbranch_execz .LBB8_53
; %bb.55:                               ;   in Loop: Header=BB8_54 Depth=4
	v_ashrrev_i32_e32 v17, 31, v16
	s_mov_b32 s3, exec_lo
	s_delay_alu instid0(VALU_DEP_1) | instskip(NEXT) | instid1(VALU_DEP_1)
	v_add_nc_u64_e32 v[20:21], 1, v[16:17]
	v_mad_nc_u64_u32 v[18:19], v20, s16, -1
	s_delay_alu instid0(VALU_DEP_1) | instskip(NEXT) | instid1(VALU_DEP_1)
	v_mad_u32 v1, v21, s16, v19
	v_mad_u32 v19, v20, s17, v1
                                        ; implicit-def: $vgpr20_vgpr21
	s_delay_alu instid0(VALU_DEP_1) | instskip(NEXT) | instid1(VALU_DEP_1)
	v_or_b32_e32 v1, s21, v19
	v_cmpx_ne_u64_e32 0, v[0:1]
	s_xor_b32 s47, exec_lo, s3
	s_cbranch_execz .LBB8_57
; %bb.56:                               ;   in Loop: Header=BB8_54 Depth=4
	s_ashr_i32 s40, s21, 31
	v_dual_mov_b32 v23, v0 :: v_dual_ashrrev_i32 v20, 31, v19
	s_mov_b32 s41, s40
	s_delay_alu instid0(SALU_CYCLE_1) | instskip(NEXT) | instid1(VALU_DEP_1)
	s_add_nc_u64 s[42:43], s[20:21], s[40:41]
	v_mov_b32_e32 v21, v20
	s_xor_b64 s[42:43], s[42:43], s[40:41]
	s_delay_alu instid0(SALU_CYCLE_1)
	s_cvt_f32_u32 s3, s42
	s_cvt_f32_u32 s14, s43
	s_sub_nc_u64 s[56:57], 0, s[42:43]
	v_add_nc_u64_e32 v[18:19], v[18:19], v[20:21]
	v_mov_b32_e32 v27, v0
	s_fmamk_f32 s3, s14, 0x4f800000, s3
	s_delay_alu instid0(SALU_CYCLE_3) | instskip(NEXT) | instid1(VALU_DEP_2)
	v_s_rcp_f32 s3, s3
	v_xor_b32_e32 v22, v18, v20
	s_delay_alu instid0(VALU_DEP_3) | instskip(SKIP_1) | instid1(TRANS32_DEP_1)
	v_dual_mov_b32 v31, v0 :: v_dual_bitop2_b32 v26, v19, v20 bitop3:0x14
	v_xor_b32_e32 v20, s40, v20
	s_mul_f32 s3, s3, 0x5f7ffffc
	s_delay_alu instid0(SALU_CYCLE_3) | instskip(NEXT) | instid1(SALU_CYCLE_3)
	s_mul_f32 s14, s3, 0x2f800000
	s_trunc_f32 s14, s14
	s_delay_alu instid0(SALU_CYCLE_3) | instskip(SKIP_1) | instid1(SALU_CYCLE_2)
	s_fmamk_f32 s3, s14, 0xcf800000, s3
	s_cvt_u32_f32 s49, s14
	s_cvt_u32_f32 s48, s3
	s_delay_alu instid0(SALU_CYCLE_3) | instskip(NEXT) | instid1(SALU_CYCLE_1)
	s_mul_u64 s[58:59], s[56:57], s[48:49]
	s_mul_hi_u32 s61, s48, s59
	s_mul_i32 s60, s48, s59
	s_mul_hi_u32 s14, s48, s58
	s_mul_i32 s41, s49, s58
	s_add_nc_u64 s[60:61], s[14:15], s[60:61]
	s_mul_hi_u32 s3, s49, s58
	s_mul_hi_u32 s62, s49, s59
	s_add_co_u32 s14, s60, s41
	s_add_co_ci_u32 s14, s61, s3
	s_mul_i32 s58, s49, s59
	s_add_co_ci_u32 s59, s62, 0
	s_delay_alu instid0(SALU_CYCLE_1) | instskip(NEXT) | instid1(SALU_CYCLE_1)
	s_add_nc_u64 s[58:59], s[14:15], s[58:59]
	s_add_co_u32 s48, s48, s58
	s_cselect_b32 s3, -1, 0
	s_delay_alu instid0(SALU_CYCLE_1) | instskip(SKIP_1) | instid1(SALU_CYCLE_1)
	s_cmp_lg_u32 s3, 0
	s_add_co_ci_u32 s49, s49, s59
	s_mul_u64 s[56:57], s[56:57], s[48:49]
	s_delay_alu instid0(SALU_CYCLE_1)
	s_mul_hi_u32 s59, s48, s57
	s_mul_i32 s58, s48, s57
	s_mul_hi_u32 s14, s48, s56
	s_mul_i32 s41, s49, s56
	s_add_nc_u64 s[58:59], s[14:15], s[58:59]
	s_mul_hi_u32 s3, s49, s56
	s_mul_hi_u32 s60, s49, s57
	s_add_co_u32 s14, s58, s41
	s_add_co_ci_u32 s14, s59, s3
	s_mul_i32 s56, s49, s57
	s_add_co_ci_u32 s57, s60, 0
	s_delay_alu instid0(SALU_CYCLE_1) | instskip(NEXT) | instid1(SALU_CYCLE_1)
	s_add_nc_u64 s[56:57], s[14:15], s[56:57]
	s_add_co_u32 s48, s48, s56
	s_cselect_b32 s3, -1, 0
	v_mul_hi_u32 v30, v22, s48
	s_cmp_lg_u32 s3, 0
	s_add_co_ci_u32 s14, s49, s57
	s_and_b64 s[56:57], s[48:49], s[24:25]
	v_mul_u64_e32 v[24:25], s[14:15], v[22:23]
	v_mul_u64_e32 v[18:19], s[56:57], v[26:27]
	;; [unrolled: 1-line block ×3, first 2 shown]
	s_delay_alu instid0(VALU_DEP_3) | instskip(NEXT) | instid1(VALU_DEP_1)
	v_add_nc_u64_e32 v[24:25], v[30:31], v[24:25]
	v_add_co_u32 v1, vcc_lo, v24, v18
	s_delay_alu instid0(VALU_DEP_2) | instskip(NEXT) | instid1(VALU_DEP_4)
	v_add_co_ci_u32_e32 v30, vcc_lo, v25, v19, vcc_lo
	v_add_co_ci_u32_e32 v29, vcc_lo, 0, v29, vcc_lo
	s_delay_alu instid0(VALU_DEP_1) | instskip(NEXT) | instid1(VALU_DEP_1)
	v_add_nc_u64_e32 v[18:19], v[30:31], v[28:29]
	v_mul_u64_e32 v[24:25], s[42:43], v[18:19]
	s_delay_alu instid0(VALU_DEP_1) | instskip(NEXT) | instid1(VALU_DEP_2)
	v_sub_nc_u32_e32 v1, v26, v25
	v_sub_co_u32 v7, vcc_lo, v22, v24
	s_delay_alu instid0(VALU_DEP_1) | instskip(NEXT) | instid1(VALU_DEP_3)
	v_sub_co_ci_u32_e64 v21, null, v26, v25, vcc_lo
	v_subrev_co_ci_u32_e64 v1, null, s43, v1, vcc_lo
	s_delay_alu instid0(VALU_DEP_3) | instskip(SKIP_1) | instid1(VALU_DEP_3)
	v_sub_co_u32 v15, s3, v7, s42
	v_add_nc_u64_e32 v[24:25], 1, v[18:19]
	v_subrev_co_ci_u32_e64 v1, null, 0, v1, s3
	s_delay_alu instid0(VALU_DEP_3) | instskip(SKIP_1) | instid1(VALU_DEP_3)
	v_cmp_le_u32_e32 vcc_lo, s42, v15
	v_cndmask_b32_e64 v15, 0, -1, vcc_lo
	v_cmp_le_u32_e32 vcc_lo, s43, v1
	v_cndmask_b32_e64 v22, 0, -1, vcc_lo
	;; [unrolled: 2-line block ×4, first 2 shown]
	v_cmp_eq_u32_e32 vcc_lo, s43, v1
	v_cndmask_b32_e32 v1, v22, v15, vcc_lo
	v_cmp_eq_u32_e32 vcc_lo, s43, v21
	v_add_nc_u64_e32 v[22:23], 2, v[18:19]
	v_dual_mov_b32 v21, v20 :: v_dual_cndmask_b32 v7, v26, v7, vcc_lo
	s_delay_alu instid0(VALU_DEP_4) | instskip(NEXT) | instid1(VALU_DEP_2)
	v_cmp_ne_u32_e32 vcc_lo, 0, v1
	v_cmp_ne_u32_e64 s3, 0, v7
	s_delay_alu instid0(VALU_DEP_4) | instskip(NEXT) | instid1(VALU_DEP_1)
	v_dual_cndmask_b32 v1, v25, v23, vcc_lo :: v_dual_cndmask_b32 v7, v24, v22, vcc_lo
	v_dual_cndmask_b32 v1, v19, v1, s3 :: v_dual_cndmask_b32 v7, v18, v7, s3
	s_delay_alu instid0(VALU_DEP_1) | instskip(NEXT) | instid1(VALU_DEP_2)
	v_xor_b32_e32 v19, v1, v20
	v_xor_b32_e32 v18, v7, v20
	s_delay_alu instid0(VALU_DEP_1)
	v_sub_nc_u64_e32 v[20:21], v[18:19], v[20:21]
                                        ; implicit-def: $vgpr18_vgpr19
.LBB8_57:                               ;   in Loop: Header=BB8_54 Depth=4
	s_or_saveexec_b32 s3, s47
	v_cvt_f32_u32_e32 v7, s20
	s_xor_b32 exec_lo, exec_lo, s3
	s_cbranch_execz .LBB8_59
; %bb.58:                               ;   in Loop: Header=BB8_54 Depth=4
	s_delay_alu instid0(VALU_DEP_1) | instskip(SKIP_2) | instid1(TRANS32_DEP_1)
	v_rcp_iflag_f32_e32 v1, v7
	s_sub_co_i32 s14, 0, s20
	v_nop
	v_mul_f32_e32 v1, 0x4f7ffffe, v1
	s_delay_alu instid0(VALU_DEP_1) | instskip(NEXT) | instid1(VALU_DEP_1)
	v_cvt_u32_f32_e32 v1, v1
	v_mul_lo_u32 v15, s14, v1
	s_delay_alu instid0(VALU_DEP_1) | instskip(NEXT) | instid1(VALU_DEP_1)
	v_mul_hi_u32 v15, v1, v15
	v_add_nc_u32_e32 v1, v1, v15
	s_delay_alu instid0(VALU_DEP_1) | instskip(NEXT) | instid1(VALU_DEP_1)
	v_mul_hi_u32 v1, v18, v1
	v_mul_lo_u32 v15, v1, s20
	s_delay_alu instid0(VALU_DEP_1) | instskip(NEXT) | instid1(VALU_DEP_1)
	v_sub_nc_u32_e32 v15, v18, v15
	v_subrev_nc_u32_e32 v19, s20, v15
	v_cmp_le_u32_e32 vcc_lo, s20, v15
	s_delay_alu instid0(VALU_DEP_2) | instskip(NEXT) | instid1(VALU_DEP_1)
	v_dual_cndmask_b32 v15, v15, v19 :: v_dual_add_nc_u32 v18, 1, v1
	v_cndmask_b32_e32 v1, v1, v18, vcc_lo
	s_delay_alu instid0(VALU_DEP_2) | instskip(NEXT) | instid1(VALU_DEP_2)
	v_cmp_le_u32_e32 vcc_lo, s20, v15
	v_add_nc_u32_e32 v18, 1, v1
	s_delay_alu instid0(VALU_DEP_1)
	v_cndmask_b32_e32 v20, v1, v18, vcc_lo
.LBB8_59:                               ;   in Loop: Header=BB8_54 Depth=4
	s_or_b32 exec_lo, exec_lo, s3
	v_or_b32_e32 v1, s21, v17
                                        ; implicit-def: $vgpr22_vgpr23
	s_mov_b32 s3, exec_lo
	s_delay_alu instid0(VALU_DEP_1)
	v_cmpx_ne_u64_e32 0, v[0:1]
	s_xor_b32 s47, exec_lo, s3
	s_cbranch_execz .LBB8_61
; %bb.60:                               ;   in Loop: Header=BB8_54 Depth=4
	s_ashr_i32 s40, s21, 31
	v_dual_mov_b32 v25, v0 :: v_dual_ashrrev_i32 v18, 31, v17
	s_mov_b32 s41, s40
	v_mov_b32_e32 v29, v0
	s_add_nc_u64 s[42:43], s[20:21], s[40:41]
	s_delay_alu instid0(VALU_DEP_2)
	v_mov_b32_e32 v19, v18
	s_xor_b64 s[42:43], s[42:43], s[40:41]
	v_mov_b32_e32 v33, v0
	s_cvt_f32_u32 s3, s42
	s_cvt_f32_u32 s14, s43
	s_sub_nc_u64 s[56:57], 0, s[42:43]
	v_add_nc_u64_e32 v[22:23], v[16:17], v[18:19]
	s_delay_alu instid0(SALU_CYCLE_1) | instskip(NEXT) | instid1(SALU_CYCLE_3)
	s_fmamk_f32 s3, s14, 0x4f800000, s3
	v_s_rcp_f32 s3, s3
	s_delay_alu instid0(VALU_DEP_1) | instskip(NEXT) | instid1(VALU_DEP_2)
	v_xor_b32_e32 v24, v22, v18
	v_xor_b32_e32 v28, v23, v18
	s_delay_alu instid0(TRANS32_DEP_1) | instskip(NEXT) | instid1(SALU_CYCLE_3)
	s_mul_f32 s3, s3, 0x5f7ffffc
	s_mul_f32 s14, s3, 0x2f800000
	s_delay_alu instid0(SALU_CYCLE_3) | instskip(NEXT) | instid1(SALU_CYCLE_3)
	s_trunc_f32 s14, s14
	s_fmamk_f32 s3, s14, 0xcf800000, s3
	s_cvt_u32_f32 s49, s14
	s_delay_alu instid0(SALU_CYCLE_2) | instskip(NEXT) | instid1(SALU_CYCLE_3)
	s_cvt_u32_f32 s48, s3
	s_mul_u64 s[58:59], s[56:57], s[48:49]
	s_delay_alu instid0(SALU_CYCLE_1)
	s_mul_hi_u32 s61, s48, s59
	s_mul_i32 s60, s48, s59
	s_mul_hi_u32 s14, s48, s58
	s_mul_i32 s41, s49, s58
	s_add_nc_u64 s[60:61], s[14:15], s[60:61]
	s_mul_hi_u32 s3, s49, s58
	s_mul_hi_u32 s62, s49, s59
	s_add_co_u32 s14, s60, s41
	s_add_co_ci_u32 s14, s61, s3
	s_mul_i32 s58, s49, s59
	s_add_co_ci_u32 s59, s62, 0
	s_delay_alu instid0(SALU_CYCLE_1) | instskip(NEXT) | instid1(SALU_CYCLE_1)
	s_add_nc_u64 s[58:59], s[14:15], s[58:59]
	s_add_co_u32 s48, s48, s58
	s_cselect_b32 s3, -1, 0
	s_delay_alu instid0(SALU_CYCLE_1) | instskip(SKIP_1) | instid1(SALU_CYCLE_1)
	s_cmp_lg_u32 s3, 0
	s_add_co_ci_u32 s49, s49, s59
	s_mul_u64 s[56:57], s[56:57], s[48:49]
	s_delay_alu instid0(SALU_CYCLE_1)
	s_mul_hi_u32 s59, s48, s57
	s_mul_i32 s58, s48, s57
	s_mul_hi_u32 s14, s48, s56
	s_mul_i32 s41, s49, s56
	s_add_nc_u64 s[58:59], s[14:15], s[58:59]
	s_mul_hi_u32 s3, s49, s56
	s_mul_hi_u32 s60, s49, s57
	s_add_co_u32 s14, s58, s41
	s_add_co_ci_u32 s14, s59, s3
	s_mul_i32 s56, s49, s57
	s_add_co_ci_u32 s57, s60, 0
	s_delay_alu instid0(SALU_CYCLE_1) | instskip(NEXT) | instid1(SALU_CYCLE_1)
	s_add_nc_u64 s[56:57], s[14:15], s[56:57]
	s_add_co_u32 s48, s48, s56
	s_cselect_b32 s3, -1, 0
	v_mul_hi_u32 v32, v24, s48
	s_cmp_lg_u32 s3, 0
	s_add_co_ci_u32 s14, s49, s57
	s_and_b64 s[56:57], s[48:49], s[24:25]
	v_mul_u64_e32 v[26:27], s[14:15], v[24:25]
	v_mul_u64_e32 v[22:23], s[56:57], v[28:29]
	;; [unrolled: 1-line block ×3, first 2 shown]
	s_delay_alu instid0(VALU_DEP_3) | instskip(NEXT) | instid1(VALU_DEP_1)
	v_add_nc_u64_e32 v[26:27], v[32:33], v[26:27]
	v_add_co_u32 v1, vcc_lo, v26, v22
	s_delay_alu instid0(VALU_DEP_2) | instskip(NEXT) | instid1(VALU_DEP_4)
	v_add_co_ci_u32_e32 v32, vcc_lo, v27, v23, vcc_lo
	v_add_co_ci_u32_e32 v31, vcc_lo, 0, v31, vcc_lo
	s_delay_alu instid0(VALU_DEP_1) | instskip(NEXT) | instid1(VALU_DEP_1)
	v_add_nc_u64_e32 v[22:23], v[32:33], v[30:31]
	v_mul_u64_e32 v[26:27], s[42:43], v[22:23]
	s_delay_alu instid0(VALU_DEP_1) | instskip(NEXT) | instid1(VALU_DEP_2)
	v_sub_nc_u32_e32 v1, v28, v27
	v_sub_co_u32 v15, vcc_lo, v24, v26
	s_delay_alu instid0(VALU_DEP_1) | instskip(NEXT) | instid1(VALU_DEP_3)
	v_sub_co_ci_u32_e64 v21, null, v28, v27, vcc_lo
	v_subrev_co_ci_u32_e64 v1, null, s43, v1, vcc_lo
	s_delay_alu instid0(VALU_DEP_3) | instskip(SKIP_1) | instid1(VALU_DEP_3)
	v_sub_co_u32 v19, s3, v15, s42
	v_add_nc_u64_e32 v[26:27], 1, v[22:23]
	v_subrev_co_ci_u32_e64 v1, null, 0, v1, s3
	s_delay_alu instid0(VALU_DEP_3) | instskip(SKIP_1) | instid1(VALU_DEP_3)
	v_cmp_le_u32_e32 vcc_lo, s42, v19
	v_cndmask_b32_e64 v19, 0, -1, vcc_lo
	v_cmp_le_u32_e32 vcc_lo, s43, v1
	v_cndmask_b32_e64 v24, 0, -1, vcc_lo
	;; [unrolled: 2-line block ×4, first 2 shown]
	v_cmp_eq_u32_e32 vcc_lo, s43, v1
	v_cndmask_b32_e32 v1, v24, v19, vcc_lo
	v_cmp_eq_u32_e32 vcc_lo, s43, v21
	v_add_nc_u64_e32 v[24:25], 2, v[22:23]
	v_cndmask_b32_e32 v15, v28, v15, vcc_lo
	s_delay_alu instid0(VALU_DEP_4) | instskip(NEXT) | instid1(VALU_DEP_3)
	v_cmp_ne_u32_e32 vcc_lo, 0, v1
	v_cndmask_b32_e32 v1, v27, v25, vcc_lo
	s_delay_alu instid0(VALU_DEP_3) | instskip(SKIP_1) | instid1(VALU_DEP_1)
	v_cmp_ne_u32_e64 s3, 0, v15
	v_dual_cndmask_b32 v15, v26, v24, vcc_lo :: v_dual_bitop2_b32 v18, s40, v18 bitop3:0x14
	v_dual_cndmask_b32 v1, v23, v1, s3 :: v_dual_cndmask_b32 v15, v22, v15, s3
	s_delay_alu instid0(VALU_DEP_1) | instskip(NEXT) | instid1(VALU_DEP_2)
	v_dual_mov_b32 v19, v18 :: v_dual_bitop2_b32 v23, v1, v18 bitop3:0x14
	v_xor_b32_e32 v22, v15, v18
	s_delay_alu instid0(VALU_DEP_1)
	v_sub_nc_u64_e32 v[22:23], v[22:23], v[18:19]
.LBB8_61:                               ;   in Loop: Header=BB8_54 Depth=4
	s_and_not1_saveexec_b32 s3, s47
	s_cbranch_execz .LBB8_63
; %bb.62:                               ;   in Loop: Header=BB8_54 Depth=4
	v_rcp_iflag_f32_e32 v1, v7
	s_sub_co_i32 s14, 0, s20
	v_mov_b32_e32 v23, v0
	s_delay_alu instid0(TRANS32_DEP_1) | instskip(NEXT) | instid1(VALU_DEP_1)
	v_mul_f32_e32 v1, 0x4f7ffffe, v1
	v_cvt_u32_f32_e32 v1, v1
	s_delay_alu instid0(VALU_DEP_1) | instskip(NEXT) | instid1(VALU_DEP_1)
	v_mul_lo_u32 v15, s14, v1
	v_mul_hi_u32 v15, v1, v15
	s_delay_alu instid0(VALU_DEP_1) | instskip(NEXT) | instid1(VALU_DEP_1)
	v_add_nc_u32_e32 v1, v1, v15
	v_mul_hi_u32 v1, v16, v1
	s_delay_alu instid0(VALU_DEP_1) | instskip(NEXT) | instid1(VALU_DEP_1)
	v_mul_lo_u32 v15, v1, s20
	v_sub_nc_u32_e32 v15, v16, v15
	s_delay_alu instid0(VALU_DEP_1) | instskip(SKIP_1) | instid1(VALU_DEP_2)
	v_subrev_nc_u32_e32 v19, s20, v15
	v_cmp_le_u32_e32 vcc_lo, s20, v15
	v_dual_cndmask_b32 v15, v15, v19 :: v_dual_add_nc_u32 v18, 1, v1
	s_delay_alu instid0(VALU_DEP_1) | instskip(NEXT) | instid1(VALU_DEP_2)
	v_cndmask_b32_e32 v1, v1, v18, vcc_lo
	v_cmp_le_u32_e32 vcc_lo, s20, v15
	s_delay_alu instid0(VALU_DEP_2) | instskip(NEXT) | instid1(VALU_DEP_1)
	v_add_nc_u32_e32 v18, 1, v1
	v_cndmask_b32_e32 v22, v1, v18, vcc_lo
.LBB8_63:                               ;   in Loop: Header=BB8_54 Depth=4
	s_or_b32 exec_lo, exec_lo, s3
	s_delay_alu instid0(VALU_DEP_1) | instskip(SKIP_1) | instid1(VALU_DEP_1)
	v_mul_u64_e32 v[18:19], s[20:21], v[22:23]
                                        ; implicit-def: $vgpr24_vgpr25
	s_mov_b32 s3, exec_lo
	v_sub_nc_u64_e32 v[18:19], v[16:17], v[18:19]
	s_delay_alu instid0(VALU_DEP_1) | instskip(NEXT) | instid1(VALU_DEP_1)
	v_mul_u64_e32 v[18:19], s[16:17], v[18:19]
	v_or_b32_e32 v1, s21, v19
	s_delay_alu instid0(VALU_DEP_1)
	v_cmpx_ne_u64_e32 0, v[0:1]
	s_xor_b32 s47, exec_lo, s3
	s_cbranch_execz .LBB8_65
; %bb.64:                               ;   in Loop: Header=BB8_54 Depth=4
	s_ashr_i32 s40, s21, 31
	v_dual_mov_b32 v27, v0 :: v_dual_ashrrev_i32 v24, 31, v19
	s_mov_b32 s41, s40
	s_delay_alu instid0(SALU_CYCLE_1) | instskip(NEXT) | instid1(VALU_DEP_1)
	s_add_nc_u64 s[42:43], s[20:21], s[40:41]
	v_mov_b32_e32 v25, v24
	s_xor_b64 s[42:43], s[42:43], s[40:41]
	s_delay_alu instid0(SALU_CYCLE_1)
	s_cvt_f32_u32 s3, s42
	s_cvt_f32_u32 s14, s43
	s_sub_nc_u64 s[56:57], 0, s[42:43]
	v_add_nc_u64_e32 v[18:19], v[18:19], v[24:25]
	v_mov_b32_e32 v31, v0
	s_fmamk_f32 s3, s14, 0x4f800000, s3
	s_delay_alu instid0(SALU_CYCLE_3) | instskip(NEXT) | instid1(VALU_DEP_2)
	v_s_rcp_f32 s3, s3
	v_xor_b32_e32 v26, v18, v24
	s_delay_alu instid0(VALU_DEP_3) | instskip(SKIP_1) | instid1(TRANS32_DEP_1)
	v_dual_mov_b32 v43, v0 :: v_dual_bitop2_b32 v30, v19, v24 bitop3:0x14
	v_xor_b32_e32 v24, s40, v24
	s_mul_f32 s3, s3, 0x5f7ffffc
	s_delay_alu instid0(VALU_DEP_1) | instskip(NEXT) | instid1(SALU_CYCLE_2)
	v_mov_b32_e32 v25, v24
	s_mul_f32 s14, s3, 0x2f800000
	s_delay_alu instid0(SALU_CYCLE_3) | instskip(NEXT) | instid1(SALU_CYCLE_3)
	s_trunc_f32 s14, s14
	s_fmamk_f32 s3, s14, 0xcf800000, s3
	s_cvt_u32_f32 s49, s14
	s_delay_alu instid0(SALU_CYCLE_2) | instskip(NEXT) | instid1(SALU_CYCLE_3)
	s_cvt_u32_f32 s48, s3
	s_mul_u64 s[58:59], s[56:57], s[48:49]
	s_delay_alu instid0(SALU_CYCLE_1)
	s_mul_hi_u32 s61, s48, s59
	s_mul_i32 s60, s48, s59
	s_mul_hi_u32 s14, s48, s58
	s_mul_i32 s41, s49, s58
	s_add_nc_u64 s[60:61], s[14:15], s[60:61]
	s_mul_hi_u32 s3, s49, s58
	s_mul_hi_u32 s62, s49, s59
	s_add_co_u32 s14, s60, s41
	s_add_co_ci_u32 s14, s61, s3
	s_mul_i32 s58, s49, s59
	s_add_co_ci_u32 s59, s62, 0
	s_delay_alu instid0(SALU_CYCLE_1) | instskip(NEXT) | instid1(SALU_CYCLE_1)
	s_add_nc_u64 s[58:59], s[14:15], s[58:59]
	s_add_co_u32 s48, s48, s58
	s_cselect_b32 s3, -1, 0
	s_delay_alu instid0(SALU_CYCLE_1) | instskip(SKIP_1) | instid1(SALU_CYCLE_1)
	s_cmp_lg_u32 s3, 0
	s_add_co_ci_u32 s49, s49, s59
	s_mul_u64 s[56:57], s[56:57], s[48:49]
	s_delay_alu instid0(SALU_CYCLE_1)
	s_mul_hi_u32 s59, s48, s57
	s_mul_i32 s58, s48, s57
	s_mul_hi_u32 s14, s48, s56
	s_mul_i32 s41, s49, s56
	s_add_nc_u64 s[58:59], s[14:15], s[58:59]
	s_mul_hi_u32 s3, s49, s56
	s_mul_hi_u32 s60, s49, s57
	s_add_co_u32 s14, s58, s41
	s_add_co_ci_u32 s14, s59, s3
	s_mul_i32 s56, s49, s57
	s_add_co_ci_u32 s57, s60, 0
	s_delay_alu instid0(SALU_CYCLE_1) | instskip(NEXT) | instid1(SALU_CYCLE_1)
	s_add_nc_u64 s[56:57], s[14:15], s[56:57]
	s_add_co_u32 s48, s48, s56
	s_cselect_b32 s3, -1, 0
	v_mul_hi_u32 v42, v26, s48
	s_cmp_lg_u32 s3, 0
	s_add_co_ci_u32 s14, s49, s57
	s_and_b64 s[56:57], s[48:49], s[24:25]
	v_mul_u64_e32 v[28:29], s[14:15], v[26:27]
	v_mul_u64_e32 v[18:19], s[56:57], v[30:31]
	;; [unrolled: 1-line block ×3, first 2 shown]
	s_delay_alu instid0(VALU_DEP_3) | instskip(NEXT) | instid1(VALU_DEP_1)
	v_add_nc_u64_e32 v[28:29], v[42:43], v[28:29]
	v_add_co_u32 v1, vcc_lo, v28, v18
	s_delay_alu instid0(VALU_DEP_2) | instskip(NEXT) | instid1(VALU_DEP_4)
	v_add_co_ci_u32_e32 v42, vcc_lo, v29, v19, vcc_lo
	v_add_co_ci_u32_e32 v33, vcc_lo, 0, v33, vcc_lo
	s_delay_alu instid0(VALU_DEP_1) | instskip(NEXT) | instid1(VALU_DEP_1)
	v_add_nc_u64_e32 v[18:19], v[42:43], v[32:33]
	v_mul_u64_e32 v[28:29], s[42:43], v[18:19]
	s_delay_alu instid0(VALU_DEP_1) | instskip(NEXT) | instid1(VALU_DEP_2)
	v_sub_nc_u32_e32 v1, v30, v29
	v_sub_co_u32 v7, vcc_lo, v26, v28
	s_delay_alu instid0(VALU_DEP_1) | instskip(NEXT) | instid1(VALU_DEP_3)
	v_sub_co_ci_u32_e64 v17, null, v30, v29, vcc_lo
	v_subrev_co_ci_u32_e64 v1, null, s43, v1, vcc_lo
	s_delay_alu instid0(VALU_DEP_3) | instskip(SKIP_1) | instid1(VALU_DEP_3)
	v_sub_co_u32 v15, s3, v7, s42
	v_add_nc_u64_e32 v[26:27], 2, v[18:19]
	v_subrev_co_ci_u32_e64 v1, null, 0, v1, s3
	s_delay_alu instid0(VALU_DEP_3) | instskip(SKIP_2) | instid1(VALU_DEP_4)
	v_cmp_le_u32_e32 vcc_lo, s42, v15
	v_add_nc_u64_e32 v[28:29], 1, v[18:19]
	v_cndmask_b32_e64 v15, 0, -1, vcc_lo
	v_cmp_le_u32_e32 vcc_lo, s43, v1
	v_cndmask_b32_e64 v21, 0, -1, vcc_lo
	v_cmp_le_u32_e32 vcc_lo, s42, v7
	;; [unrolled: 2-line block ×3, first 2 shown]
	v_cndmask_b32_e64 v23, 0, -1, vcc_lo
	v_cmp_eq_u32_e32 vcc_lo, s43, v1
	v_cndmask_b32_e32 v1, v21, v15, vcc_lo
	v_cmp_eq_u32_e32 vcc_lo, s43, v17
	s_delay_alu instid0(VALU_DEP_4) | instskip(NEXT) | instid1(VALU_DEP_3)
	v_cndmask_b32_e32 v7, v23, v7, vcc_lo
	v_cmp_ne_u32_e32 vcc_lo, 0, v1
	s_delay_alu instid0(VALU_DEP_2) | instskip(SKIP_1) | instid1(VALU_DEP_1)
	v_cmp_ne_u32_e64 s3, 0, v7
	v_dual_cndmask_b32 v1, v29, v27, vcc_lo :: v_dual_cndmask_b32 v7, v28, v26, vcc_lo
	v_dual_cndmask_b32 v1, v19, v1, s3 :: v_dual_cndmask_b32 v7, v18, v7, s3
	s_delay_alu instid0(VALU_DEP_1) | instskip(NEXT) | instid1(VALU_DEP_2)
	v_xor_b32_e32 v19, v1, v24
	v_xor_b32_e32 v18, v7, v24
                                        ; implicit-def: $vgpr7
	s_delay_alu instid0(VALU_DEP_1)
	v_sub_nc_u64_e32 v[24:25], v[18:19], v[24:25]
                                        ; implicit-def: $vgpr18_vgpr19
.LBB8_65:                               ;   in Loop: Header=BB8_54 Depth=4
	s_and_not1_saveexec_b32 s3, s47
	s_cbranch_execz .LBB8_67
; %bb.66:                               ;   in Loop: Header=BB8_54 Depth=4
	v_rcp_iflag_f32_e32 v1, v7
	s_sub_co_i32 s14, 0, s20
	v_nop
	s_delay_alu instid0(TRANS32_DEP_1) | instskip(NEXT) | instid1(VALU_DEP_1)
	v_mul_f32_e32 v1, 0x4f7ffffe, v1
	v_cvt_u32_f32_e32 v1, v1
	s_delay_alu instid0(VALU_DEP_1) | instskip(NEXT) | instid1(VALU_DEP_1)
	v_mul_lo_u32 v7, s14, v1
	v_mul_hi_u32 v7, v1, v7
	s_delay_alu instid0(VALU_DEP_1) | instskip(NEXT) | instid1(VALU_DEP_1)
	v_add_nc_u32_e32 v1, v1, v7
	v_mul_hi_u32 v1, v18, v1
	s_delay_alu instid0(VALU_DEP_1) | instskip(NEXT) | instid1(VALU_DEP_1)
	v_mul_lo_u32 v7, v1, s20
	v_dual_add_nc_u32 v15, 1, v1 :: v_dual_sub_nc_u32 v7, v18, v7
	s_delay_alu instid0(VALU_DEP_1) | instskip(SKIP_1) | instid1(VALU_DEP_2)
	v_subrev_nc_u32_e32 v17, s20, v7
	v_cmp_le_u32_e32 vcc_lo, s20, v7
	v_dual_cndmask_b32 v7, v7, v17, vcc_lo :: v_dual_cndmask_b32 v1, v1, v15, vcc_lo
	s_delay_alu instid0(VALU_DEP_1) | instskip(NEXT) | instid1(VALU_DEP_2)
	v_cmp_le_u32_e32 vcc_lo, s20, v7
	v_add_nc_u32_e32 v15, 1, v1
	s_delay_alu instid0(VALU_DEP_1)
	v_cndmask_b32_e32 v24, v1, v15, vcc_lo
.LBB8_67:                               ;   in Loop: Header=BB8_54 Depth=4
	s_or_b32 exec_lo, exec_lo, s3
	global_load_b64 v[18:19], v[12:13], off
	v_mad_u32 v1, v22, s16, v24
	v_mov_b64_e32 v[22:23], v[10:11]
	v_mov_b64_e32 v[24:25], v[8:9]
	s_mov_b32 s47, 0
	s_delay_alu instid0(VALU_DEP_3) | instskip(NEXT) | instid1(VALU_DEP_1)
	v_dual_ashrrev_i32 v15, 31, v14 :: v_dual_sub_nc_u32 v1, v20, v1
	v_lshl_add_u64 v[20:21], v[14:15], 3, s[36:37]
	s_delay_alu instid0(VALU_DEP_2)
	v_mad_u32 v7, s44, v1, s44
	s_branch .LBB8_69
.LBB8_68:                               ;   in Loop: Header=BB8_69 Depth=5
	s_or_b32 exec_lo, exec_lo, s3
	global_load_b64 v[30:31], v[20:21], off
	v_mad_u32 v1, v28, s18, v32
	v_add_nc_u64_e32 v[24:25], 1, v[24:25]
	s_wait_xcnt 0x0
	v_add_nc_u64_e32 v[20:21], 8, v[20:21]
	v_add_nc_u64_e32 v[22:23], s[18:19], v[22:23]
	s_delay_alu instid0(VALU_DEP_4) | instskip(NEXT) | instid1(VALU_DEP_1)
	v_sub_nc_u32_e32 v1, v26, v1
	v_mad_u32 v1, v7, v1, v7
	s_delay_alu instid0(VALU_DEP_1) | instskip(SKIP_1) | instid1(VALU_DEP_1)
	v_cvt_f64_i32_e32 v[26:27], v1
	s_wait_loadcnt 0x0
	v_div_scale_f64 v[28:29], null, v[26:27], v[26:27], v[30:31]
	s_delay_alu instid0(VALU_DEP_1) | instskip(SKIP_1) | instid1(TRANS32_DEP_1)
	v_rcp_f64_e32 v[32:33], v[28:29]
	v_nop
	v_fma_f64 v[42:43], -v[28:29], v[32:33], 1.0
	s_delay_alu instid0(VALU_DEP_1) | instskip(NEXT) | instid1(VALU_DEP_1)
	v_fmac_f64_e32 v[32:33], v[32:33], v[42:43]
	v_fma_f64 v[42:43], -v[28:29], v[32:33], 1.0
	s_delay_alu instid0(VALU_DEP_1) | instskip(SKIP_1) | instid1(VALU_DEP_1)
	v_fmac_f64_e32 v[32:33], v[32:33], v[42:43]
	v_div_scale_f64 v[42:43], vcc_lo, v[30:31], v[26:27], v[30:31]
	v_mul_f64_e32 v[44:45], v[42:43], v[32:33]
	s_delay_alu instid0(VALU_DEP_1) | instskip(NEXT) | instid1(VALU_DEP_1)
	v_fma_f64 v[28:29], -v[28:29], v[44:45], v[42:43]
	v_div_fmas_f64 v[28:29], v[28:29], v[32:33], v[44:45]
	v_cmp_ge_i32_e32 vcc_lo, v24, v40
	s_or_b32 s47, vcc_lo, s47
	s_delay_alu instid0(VALU_DEP_2) | instskip(NEXT) | instid1(VALU_DEP_1)
	v_div_fixup_f64 v[26:27], v[28:29], v[26:27], v[30:31]
	v_add_f64_e32 v[18:19], v[18:19], v[26:27]
	global_store_b64 v[12:13], v[18:19], off
	s_wait_xcnt 0x0
	s_and_not1_b32 exec_lo, exec_lo, s47
	s_cbranch_execz .LBB8_53
.LBB8_69:                               ;   Parent Loop BB8_12 Depth=1
                                        ;     Parent Loop BB8_27 Depth=2
                                        ;       Parent Loop BB8_42 Depth=3
                                        ;         Parent Loop BB8_54 Depth=4
                                        ; =>        This Inner Loop Header: Depth=5
	v_or_b32_e32 v1, s23, v23
                                        ; implicit-def: $vgpr26_vgpr27
	s_mov_b32 s3, exec_lo
	s_wait_xcnt 0x0
	s_delay_alu instid0(VALU_DEP_1)
	v_cmpx_ne_u64_e32 0, v[0:1]
	s_xor_b32 s48, exec_lo, s3
	s_cbranch_execz .LBB8_71
; %bb.70:                               ;   in Loop: Header=BB8_69 Depth=5
	s_ashr_i32 s40, s23, 31
	v_dual_mov_b32 v31, v0 :: v_dual_ashrrev_i32 v26, 31, v23
	s_mov_b32 s41, s40
	s_delay_alu instid0(SALU_CYCLE_1) | instskip(NEXT) | instid1(VALU_DEP_1)
	s_add_nc_u64 s[42:43], s[22:23], s[40:41]
	v_mov_b32_e32 v27, v26
	s_xor_b64 s[42:43], s[42:43], s[40:41]
	s_delay_alu instid0(SALU_CYCLE_1)
	s_cvt_f32_u32 s3, s42
	s_cvt_f32_u32 s14, s43
	s_sub_nc_u64 s[58:59], 0, s[42:43]
	v_add_nc_u64_e32 v[28:29], v[22:23], v[26:27]
	v_mov_b32_e32 v43, v0
	s_fmamk_f32 s3, s14, 0x4f800000, s3
	s_delay_alu instid0(SALU_CYCLE_3) | instskip(NEXT) | instid1(VALU_DEP_2)
	v_s_rcp_f32 s3, s3
	v_xor_b32_e32 v30, v28, v26
	s_delay_alu instid0(VALU_DEP_3) | instskip(NEXT) | instid1(TRANS32_DEP_1)
	v_dual_mov_b32 v47, v0 :: v_dual_bitop2_b32 v42, v29, v26 bitop3:0x14
	s_mul_f32 s3, s3, 0x5f7ffffc
	s_delay_alu instid0(SALU_CYCLE_3) | instskip(NEXT) | instid1(SALU_CYCLE_3)
	s_mul_f32 s14, s3, 0x2f800000
	s_trunc_f32 s14, s14
	s_delay_alu instid0(SALU_CYCLE_3) | instskip(SKIP_1) | instid1(SALU_CYCLE_2)
	s_fmamk_f32 s3, s14, 0xcf800000, s3
	s_cvt_u32_f32 s57, s14
	s_cvt_u32_f32 s56, s3
	s_delay_alu instid0(SALU_CYCLE_3) | instskip(NEXT) | instid1(SALU_CYCLE_1)
	s_mul_u64 s[60:61], s[58:59], s[56:57]
	s_mul_hi_u32 s63, s56, s61
	s_mul_i32 s62, s56, s61
	s_mul_hi_u32 s14, s56, s60
	s_mul_i32 s41, s57, s60
	s_add_nc_u64 s[62:63], s[14:15], s[62:63]
	s_mul_hi_u32 s3, s57, s60
	s_mul_hi_u32 s49, s57, s61
	s_add_co_u32 s14, s62, s41
	s_add_co_ci_u32 s14, s63, s3
	s_mul_i32 s60, s57, s61
	s_add_co_ci_u32 s61, s49, 0
	s_delay_alu instid0(SALU_CYCLE_1) | instskip(NEXT) | instid1(SALU_CYCLE_1)
	s_add_nc_u64 s[60:61], s[14:15], s[60:61]
	s_add_co_u32 s56, s56, s60
	s_cselect_b32 s3, -1, 0
	s_delay_alu instid0(SALU_CYCLE_1) | instskip(SKIP_1) | instid1(SALU_CYCLE_1)
	s_cmp_lg_u32 s3, 0
	s_add_co_ci_u32 s57, s57, s61
	s_mul_u64 s[58:59], s[58:59], s[56:57]
	s_delay_alu instid0(SALU_CYCLE_1)
	s_mul_hi_u32 s61, s56, s59
	s_mul_i32 s60, s56, s59
	s_mul_hi_u32 s14, s56, s58
	s_mul_i32 s41, s57, s58
	s_add_nc_u64 s[60:61], s[14:15], s[60:61]
	s_mul_hi_u32 s3, s57, s58
	s_mul_hi_u32 s49, s57, s59
	s_add_co_u32 s14, s60, s41
	s_add_co_ci_u32 s14, s61, s3
	s_mul_i32 s58, s57, s59
	s_add_co_ci_u32 s59, s49, 0
	s_delay_alu instid0(SALU_CYCLE_1) | instskip(NEXT) | instid1(SALU_CYCLE_1)
	s_add_nc_u64 s[58:59], s[14:15], s[58:59]
	s_add_co_u32 s56, s56, s58
	s_cselect_b32 s3, -1, 0
	v_mul_hi_u32 v46, v30, s56
	s_cmp_lg_u32 s3, 0
	s_add_co_ci_u32 s14, s57, s59
	s_and_b64 s[58:59], s[56:57], s[24:25]
	v_mul_u64_e32 v[32:33], s[14:15], v[30:31]
	v_mul_u64_e32 v[28:29], s[58:59], v[42:43]
	v_mul_u64_e32 v[44:45], s[14:15], v[42:43]
	s_delay_alu instid0(VALU_DEP_3) | instskip(NEXT) | instid1(VALU_DEP_1)
	v_add_nc_u64_e32 v[32:33], v[46:47], v[32:33]
	v_add_co_u32 v1, vcc_lo, v32, v28
	s_delay_alu instid0(VALU_DEP_2) | instskip(NEXT) | instid1(VALU_DEP_4)
	v_add_co_ci_u32_e32 v46, vcc_lo, v33, v29, vcc_lo
	v_add_co_ci_u32_e32 v45, vcc_lo, 0, v45, vcc_lo
	s_delay_alu instid0(VALU_DEP_1) | instskip(NEXT) | instid1(VALU_DEP_1)
	v_add_nc_u64_e32 v[28:29], v[46:47], v[44:45]
	v_mul_u64_e32 v[32:33], s[42:43], v[28:29]
	s_delay_alu instid0(VALU_DEP_1) | instskip(NEXT) | instid1(VALU_DEP_2)
	v_sub_nc_u32_e32 v1, v42, v33
	v_sub_co_u32 v15, vcc_lo, v30, v32
	s_delay_alu instid0(VALU_DEP_1) | instskip(NEXT) | instid1(VALU_DEP_3)
	v_sub_co_ci_u32_e64 v27, null, v42, v33, vcc_lo
	v_subrev_co_ci_u32_e64 v1, null, s43, v1, vcc_lo
	s_delay_alu instid0(VALU_DEP_3) | instskip(SKIP_1) | instid1(VALU_DEP_3)
	v_sub_co_u32 v17, s3, v15, s42
	v_add_nc_u64_e32 v[32:33], 1, v[28:29]
	v_subrev_co_ci_u32_e64 v1, null, 0, v1, s3
	s_delay_alu instid0(VALU_DEP_3) | instskip(SKIP_1) | instid1(VALU_DEP_3)
	v_cmp_le_u32_e32 vcc_lo, s42, v17
	v_cndmask_b32_e64 v17, 0, -1, vcc_lo
	v_cmp_le_u32_e32 vcc_lo, s43, v1
	v_cndmask_b32_e64 v30, 0, -1, vcc_lo
	;; [unrolled: 2-line block ×4, first 2 shown]
	v_cmp_eq_u32_e32 vcc_lo, s43, v1
	v_cndmask_b32_e32 v1, v30, v17, vcc_lo
	v_cmp_eq_u32_e32 vcc_lo, s43, v27
	v_add_nc_u64_e32 v[30:31], 2, v[28:29]
	v_cndmask_b32_e32 v15, v41, v15, vcc_lo
	s_delay_alu instid0(VALU_DEP_4) | instskip(NEXT) | instid1(VALU_DEP_2)
	v_cmp_ne_u32_e32 vcc_lo, 0, v1
	v_cmp_ne_u32_e64 s3, 0, v15
	s_delay_alu instid0(VALU_DEP_4) | instskip(NEXT) | instid1(VALU_DEP_1)
	v_dual_cndmask_b32 v1, v33, v31, vcc_lo :: v_dual_cndmask_b32 v15, v32, v30, vcc_lo
	v_dual_cndmask_b32 v1, v29, v1, s3 :: v_dual_bitop2_b32 v26, s40, v26 bitop3:0x14
	s_delay_alu instid0(VALU_DEP_1) | instskip(NEXT) | instid1(VALU_DEP_2)
	v_dual_cndmask_b32 v15, v28, v15, s3 :: v_dual_mov_b32 v27, v26
	v_xor_b32_e32 v29, v1, v26
	s_delay_alu instid0(VALU_DEP_2) | instskip(NEXT) | instid1(VALU_DEP_1)
	v_xor_b32_e32 v28, v15, v26
	v_sub_nc_u64_e32 v[26:27], v[28:29], v[26:27]
.LBB8_71:                               ;   in Loop: Header=BB8_69 Depth=5
	s_or_saveexec_b32 s3, s48
	v_cvt_f32_u32_e32 v15, s22
	s_xor_b32 exec_lo, exec_lo, s3
	s_cbranch_execz .LBB8_73
; %bb.72:                               ;   in Loop: Header=BB8_69 Depth=5
	s_delay_alu instid0(VALU_DEP_1) | instskip(SKIP_2) | instid1(TRANS32_DEP_1)
	v_rcp_iflag_f32_e32 v1, v15
	s_sub_co_i32 s14, 0, s22
	v_nop
	v_mul_f32_e32 v1, 0x4f7ffffe, v1
	s_delay_alu instid0(VALU_DEP_1) | instskip(NEXT) | instid1(VALU_DEP_1)
	v_cvt_u32_f32_e32 v1, v1
	v_mul_lo_u32 v17, s14, v1
	s_delay_alu instid0(VALU_DEP_1) | instskip(NEXT) | instid1(VALU_DEP_1)
	v_mul_hi_u32 v17, v1, v17
	v_add_nc_u32_e32 v1, v1, v17
	s_delay_alu instid0(VALU_DEP_1) | instskip(NEXT) | instid1(VALU_DEP_1)
	v_mul_hi_u32 v1, v22, v1
	v_mul_lo_u32 v17, v1, s22
	s_delay_alu instid0(VALU_DEP_1) | instskip(NEXT) | instid1(VALU_DEP_1)
	v_sub_nc_u32_e32 v17, v22, v17
	v_subrev_nc_u32_e32 v27, s22, v17
	v_cmp_le_u32_e32 vcc_lo, s22, v17
	s_delay_alu instid0(VALU_DEP_2) | instskip(NEXT) | instid1(VALU_DEP_1)
	v_dual_cndmask_b32 v17, v17, v27 :: v_dual_add_nc_u32 v26, 1, v1
	v_cndmask_b32_e32 v1, v1, v26, vcc_lo
	s_delay_alu instid0(VALU_DEP_2) | instskip(NEXT) | instid1(VALU_DEP_2)
	v_cmp_le_u32_e32 vcc_lo, s22, v17
	v_add_nc_u32_e32 v26, 1, v1
	s_delay_alu instid0(VALU_DEP_1)
	v_cndmask_b32_e32 v26, v1, v26, vcc_lo
.LBB8_73:                               ;   in Loop: Header=BB8_69 Depth=5
	s_or_b32 exec_lo, exec_lo, s3
	v_or_b32_e32 v1, s23, v25
                                        ; implicit-def: $vgpr28_vgpr29
	s_mov_b32 s3, exec_lo
	s_delay_alu instid0(VALU_DEP_1)
	v_cmpx_ne_u64_e32 0, v[0:1]
	s_xor_b32 s48, exec_lo, s3
	s_cbranch_execz .LBB8_75
; %bb.74:                               ;   in Loop: Header=BB8_69 Depth=5
	s_ashr_i32 s40, s23, 31
	v_dual_mov_b32 v33, v0 :: v_dual_ashrrev_i32 v28, 31, v25
	s_mov_b32 s41, s40
	v_mov_b32_e32 v49, v0
	s_add_nc_u64 s[42:43], s[22:23], s[40:41]
	s_delay_alu instid0(VALU_DEP_2) | instskip(SKIP_1) | instid1(SALU_CYCLE_1)
	v_mov_b32_e32 v29, v28
	s_xor_b64 s[42:43], s[42:43], s[40:41]
	s_cvt_f32_u32 s3, s42
	s_cvt_f32_u32 s14, s43
	s_sub_nc_u64 s[58:59], 0, s[42:43]
	v_add_nc_u64_e32 v[30:31], v[24:25], v[28:29]
	v_mov_b32_e32 v45, v0
	s_fmamk_f32 s3, s14, 0x4f800000, s3
	s_delay_alu instid0(SALU_CYCLE_3) | instskip(NEXT) | instid1(VALU_DEP_2)
	v_s_rcp_f32 s3, s3
	v_xor_b32_e32 v32, v30, v28
	s_delay_alu instid0(VALU_DEP_3) | instskip(SKIP_1) | instid1(TRANS32_DEP_1)
	v_xor_b32_e32 v44, v31, v28
	v_xor_b32_e32 v28, s40, v28
	s_mul_f32 s3, s3, 0x5f7ffffc
	s_delay_alu instid0(SALU_CYCLE_3) | instskip(NEXT) | instid1(SALU_CYCLE_3)
	s_mul_f32 s14, s3, 0x2f800000
	s_trunc_f32 s14, s14
	s_delay_alu instid0(SALU_CYCLE_3) | instskip(SKIP_1) | instid1(SALU_CYCLE_2)
	s_fmamk_f32 s3, s14, 0xcf800000, s3
	s_cvt_u32_f32 s57, s14
	s_cvt_u32_f32 s56, s3
	s_delay_alu instid0(SALU_CYCLE_3) | instskip(NEXT) | instid1(SALU_CYCLE_1)
	s_mul_u64 s[60:61], s[58:59], s[56:57]
	s_mul_hi_u32 s63, s56, s61
	s_mul_i32 s62, s56, s61
	s_mul_hi_u32 s14, s56, s60
	s_mul_i32 s41, s57, s60
	s_add_nc_u64 s[62:63], s[14:15], s[62:63]
	s_mul_hi_u32 s3, s57, s60
	s_mul_hi_u32 s49, s57, s61
	s_add_co_u32 s14, s62, s41
	s_add_co_ci_u32 s14, s63, s3
	s_mul_i32 s60, s57, s61
	s_add_co_ci_u32 s61, s49, 0
	s_delay_alu instid0(SALU_CYCLE_1) | instskip(NEXT) | instid1(SALU_CYCLE_1)
	s_add_nc_u64 s[60:61], s[14:15], s[60:61]
	s_add_co_u32 s56, s56, s60
	s_cselect_b32 s3, -1, 0
	s_delay_alu instid0(SALU_CYCLE_1) | instskip(SKIP_1) | instid1(SALU_CYCLE_1)
	s_cmp_lg_u32 s3, 0
	s_add_co_ci_u32 s57, s57, s61
	s_mul_u64 s[58:59], s[58:59], s[56:57]
	s_delay_alu instid0(SALU_CYCLE_1)
	s_mul_hi_u32 s61, s56, s59
	s_mul_i32 s60, s56, s59
	s_mul_hi_u32 s14, s56, s58
	s_mul_i32 s41, s57, s58
	s_add_nc_u64 s[60:61], s[14:15], s[60:61]
	s_mul_hi_u32 s3, s57, s58
	s_mul_hi_u32 s49, s57, s59
	s_add_co_u32 s14, s60, s41
	s_add_co_ci_u32 s14, s61, s3
	s_mul_i32 s58, s57, s59
	s_add_co_ci_u32 s59, s49, 0
	s_delay_alu instid0(SALU_CYCLE_1) | instskip(NEXT) | instid1(SALU_CYCLE_1)
	s_add_nc_u64 s[58:59], s[14:15], s[58:59]
	s_add_co_u32 s56, s56, s58
	s_cselect_b32 s3, -1, 0
	v_mul_hi_u32 v48, v32, s56
	s_cmp_lg_u32 s3, 0
	s_add_co_ci_u32 s14, s57, s59
	s_and_b64 s[58:59], s[56:57], s[24:25]
	v_mul_u64_e32 v[42:43], s[14:15], v[32:33]
	v_mul_u64_e32 v[30:31], s[58:59], v[44:45]
	;; [unrolled: 1-line block ×3, first 2 shown]
	s_delay_alu instid0(VALU_DEP_3) | instskip(NEXT) | instid1(VALU_DEP_1)
	v_add_nc_u64_e32 v[42:43], v[48:49], v[42:43]
	v_add_co_u32 v1, vcc_lo, v42, v30
	s_delay_alu instid0(VALU_DEP_2) | instskip(NEXT) | instid1(VALU_DEP_4)
	v_add_co_ci_u32_e32 v48, vcc_lo, v43, v31, vcc_lo
	v_add_co_ci_u32_e32 v47, vcc_lo, 0, v47, vcc_lo
	s_delay_alu instid0(VALU_DEP_1) | instskip(NEXT) | instid1(VALU_DEP_1)
	v_add_nc_u64_e32 v[30:31], v[48:49], v[46:47]
	v_mul_u64_e32 v[42:43], s[42:43], v[30:31]
	s_delay_alu instid0(VALU_DEP_1) | instskip(NEXT) | instid1(VALU_DEP_2)
	v_sub_nc_u32_e32 v1, v44, v43
	v_sub_co_u32 v17, vcc_lo, v32, v42
	s_delay_alu instid0(VALU_DEP_1) | instskip(NEXT) | instid1(VALU_DEP_3)
	v_sub_co_ci_u32_e64 v29, null, v44, v43, vcc_lo
	v_subrev_co_ci_u32_e64 v1, null, s43, v1, vcc_lo
	s_delay_alu instid0(VALU_DEP_3) | instskip(SKIP_1) | instid1(VALU_DEP_3)
	v_sub_co_u32 v27, s3, v17, s42
	v_add_nc_u64_e32 v[42:43], 1, v[30:31]
	v_subrev_co_ci_u32_e64 v1, null, 0, v1, s3
	s_delay_alu instid0(VALU_DEP_3) | instskip(SKIP_1) | instid1(VALU_DEP_3)
	v_cmp_le_u32_e32 vcc_lo, s42, v27
	v_cndmask_b32_e64 v27, 0, -1, vcc_lo
	v_cmp_le_u32_e32 vcc_lo, s43, v1
	v_cndmask_b32_e64 v32, 0, -1, vcc_lo
	;; [unrolled: 2-line block ×4, first 2 shown]
	v_cmp_eq_u32_e32 vcc_lo, s43, v1
	v_cndmask_b32_e32 v1, v32, v27, vcc_lo
	v_cmp_eq_u32_e32 vcc_lo, s43, v29
	v_add_nc_u64_e32 v[32:33], 2, v[30:31]
	v_dual_mov_b32 v29, v28 :: v_dual_cndmask_b32 v17, v41, v17, vcc_lo
	s_delay_alu instid0(VALU_DEP_4) | instskip(NEXT) | instid1(VALU_DEP_2)
	v_cmp_ne_u32_e32 vcc_lo, 0, v1
	v_cmp_ne_u32_e64 s3, 0, v17
	s_delay_alu instid0(VALU_DEP_4) | instskip(NEXT) | instid1(VALU_DEP_1)
	v_dual_cndmask_b32 v1, v43, v33, vcc_lo :: v_dual_cndmask_b32 v17, v42, v32, vcc_lo
	v_cndmask_b32_e64 v17, v30, v17, s3
	s_delay_alu instid0(VALU_DEP_1) | instskip(NEXT) | instid1(VALU_DEP_1)
	v_dual_cndmask_b32 v1, v31, v1, s3 :: v_dual_bitop2_b32 v30, v17, v28 bitop3:0x14
	v_xor_b32_e32 v31, v1, v28
	s_delay_alu instid0(VALU_DEP_1)
	v_sub_nc_u64_e32 v[28:29], v[30:31], v[28:29]
.LBB8_75:                               ;   in Loop: Header=BB8_69 Depth=5
	s_and_not1_saveexec_b32 s3, s48
	s_cbranch_execz .LBB8_77
; %bb.76:                               ;   in Loop: Header=BB8_69 Depth=5
	v_rcp_iflag_f32_e32 v1, v15
	s_sub_co_i32 s14, 0, s22
	v_mov_b32_e32 v29, v0
	s_delay_alu instid0(TRANS32_DEP_1) | instskip(NEXT) | instid1(VALU_DEP_1)
	v_mul_f32_e32 v1, 0x4f7ffffe, v1
	v_cvt_u32_f32_e32 v1, v1
	s_delay_alu instid0(VALU_DEP_1) | instskip(NEXT) | instid1(VALU_DEP_1)
	v_mul_lo_u32 v17, s14, v1
	v_mul_hi_u32 v17, v1, v17
	s_delay_alu instid0(VALU_DEP_1) | instskip(NEXT) | instid1(VALU_DEP_1)
	v_add_nc_u32_e32 v1, v1, v17
	v_mul_hi_u32 v1, v24, v1
	s_delay_alu instid0(VALU_DEP_1) | instskip(NEXT) | instid1(VALU_DEP_1)
	v_mul_lo_u32 v17, v1, s22
	v_sub_nc_u32_e32 v17, v24, v17
	s_delay_alu instid0(VALU_DEP_1) | instskip(SKIP_1) | instid1(VALU_DEP_2)
	v_subrev_nc_u32_e32 v28, s22, v17
	v_cmp_le_u32_e32 vcc_lo, s22, v17
	v_dual_add_nc_u32 v27, 1, v1 :: v_dual_cndmask_b32 v17, v17, v28, vcc_lo
	s_delay_alu instid0(VALU_DEP_1) | instskip(NEXT) | instid1(VALU_DEP_2)
	v_cndmask_b32_e32 v1, v1, v27, vcc_lo
	v_cmp_le_u32_e32 vcc_lo, s22, v17
	s_delay_alu instid0(VALU_DEP_2) | instskip(NEXT) | instid1(VALU_DEP_1)
	v_add_nc_u32_e32 v27, 1, v1
	v_cndmask_b32_e32 v28, v1, v27, vcc_lo
.LBB8_77:                               ;   in Loop: Header=BB8_69 Depth=5
	s_or_b32 exec_lo, exec_lo, s3
	s_delay_alu instid0(VALU_DEP_1) | instskip(SKIP_1) | instid1(VALU_DEP_1)
	v_mul_u64_e32 v[30:31], s[22:23], v[28:29]
                                        ; implicit-def: $vgpr32_vgpr33
	s_mov_b32 s3, exec_lo
	v_sub_nc_u64_e32 v[30:31], v[24:25], v[30:31]
	s_delay_alu instid0(VALU_DEP_1) | instskip(NEXT) | instid1(VALU_DEP_1)
	v_mul_u64_e32 v[30:31], s[18:19], v[30:31]
	v_or_b32_e32 v1, s23, v31
	s_delay_alu instid0(VALU_DEP_1)
	v_cmpx_ne_u64_e32 0, v[0:1]
	s_xor_b32 s48, exec_lo, s3
	s_cbranch_execz .LBB8_79
; %bb.78:                               ;   in Loop: Header=BB8_69 Depth=5
	s_ashr_i32 s40, s23, 31
	v_dual_mov_b32 v43, v0 :: v_dual_ashrrev_i32 v32, 31, v31
	s_mov_b32 s41, s40
	s_delay_alu instid0(SALU_CYCLE_1) | instskip(NEXT) | instid1(VALU_DEP_1)
	s_add_nc_u64 s[42:43], s[22:23], s[40:41]
	v_mov_b32_e32 v33, v32
	s_xor_b64 s[42:43], s[42:43], s[40:41]
	s_delay_alu instid0(SALU_CYCLE_1)
	s_cvt_f32_u32 s3, s42
	s_cvt_f32_u32 s14, s43
	s_sub_nc_u64 s[58:59], 0, s[42:43]
	v_add_nc_u64_e32 v[30:31], v[30:31], v[32:33]
	v_mov_b32_e32 v47, v0
	s_fmamk_f32 s3, s14, 0x4f800000, s3
	s_delay_alu instid0(SALU_CYCLE_3) | instskip(NEXT) | instid1(VALU_DEP_2)
	v_s_rcp_f32 s3, s3
	v_xor_b32_e32 v42, v30, v32
	s_delay_alu instid0(VALU_DEP_3) | instskip(SKIP_1) | instid1(TRANS32_DEP_1)
	v_dual_mov_b32 v51, v0 :: v_dual_bitop2_b32 v46, v31, v32 bitop3:0x14
	v_xor_b32_e32 v32, s40, v32
	s_mul_f32 s3, s3, 0x5f7ffffc
	s_delay_alu instid0(SALU_CYCLE_3) | instskip(NEXT) | instid1(SALU_CYCLE_3)
	s_mul_f32 s14, s3, 0x2f800000
	s_trunc_f32 s14, s14
	s_delay_alu instid0(SALU_CYCLE_3) | instskip(SKIP_1) | instid1(SALU_CYCLE_2)
	s_fmamk_f32 s3, s14, 0xcf800000, s3
	s_cvt_u32_f32 s57, s14
	s_cvt_u32_f32 s56, s3
	s_delay_alu instid0(SALU_CYCLE_3) | instskip(NEXT) | instid1(SALU_CYCLE_1)
	s_mul_u64 s[60:61], s[58:59], s[56:57]
	s_mul_hi_u32 s63, s56, s61
	s_mul_i32 s62, s56, s61
	s_mul_hi_u32 s14, s56, s60
	s_mul_i32 s41, s57, s60
	s_add_nc_u64 s[62:63], s[14:15], s[62:63]
	s_mul_hi_u32 s3, s57, s60
	s_mul_hi_u32 s49, s57, s61
	s_add_co_u32 s14, s62, s41
	s_add_co_ci_u32 s14, s63, s3
	s_mul_i32 s60, s57, s61
	s_add_co_ci_u32 s61, s49, 0
	s_delay_alu instid0(SALU_CYCLE_1) | instskip(NEXT) | instid1(SALU_CYCLE_1)
	s_add_nc_u64 s[60:61], s[14:15], s[60:61]
	s_add_co_u32 s56, s56, s60
	s_cselect_b32 s3, -1, 0
	s_delay_alu instid0(SALU_CYCLE_1) | instskip(SKIP_1) | instid1(SALU_CYCLE_1)
	s_cmp_lg_u32 s3, 0
	s_add_co_ci_u32 s57, s57, s61
	s_mul_u64 s[58:59], s[58:59], s[56:57]
	s_delay_alu instid0(SALU_CYCLE_1)
	s_mul_hi_u32 s61, s56, s59
	s_mul_i32 s60, s56, s59
	s_mul_hi_u32 s14, s56, s58
	s_mul_i32 s41, s57, s58
	s_add_nc_u64 s[60:61], s[14:15], s[60:61]
	s_mul_hi_u32 s3, s57, s58
	s_mul_hi_u32 s49, s57, s59
	s_add_co_u32 s14, s60, s41
	s_add_co_ci_u32 s14, s61, s3
	s_mul_i32 s58, s57, s59
	s_add_co_ci_u32 s59, s49, 0
	s_delay_alu instid0(SALU_CYCLE_1) | instskip(NEXT) | instid1(SALU_CYCLE_1)
	s_add_nc_u64 s[58:59], s[14:15], s[58:59]
	s_add_co_u32 s56, s56, s58
	s_cselect_b32 s3, -1, 0
	v_mul_hi_u32 v50, v42, s56
	s_cmp_lg_u32 s3, 0
	s_add_co_ci_u32 s14, s57, s59
	s_and_b64 s[58:59], s[56:57], s[24:25]
	v_mul_u64_e32 v[44:45], s[14:15], v[42:43]
	v_mul_u64_e32 v[30:31], s[58:59], v[46:47]
	v_mul_u64_e32 v[48:49], s[14:15], v[46:47]
	s_delay_alu instid0(VALU_DEP_3) | instskip(NEXT) | instid1(VALU_DEP_1)
	v_add_nc_u64_e32 v[44:45], v[50:51], v[44:45]
	v_add_co_u32 v1, vcc_lo, v44, v30
	s_delay_alu instid0(VALU_DEP_2) | instskip(NEXT) | instid1(VALU_DEP_4)
	v_add_co_ci_u32_e32 v50, vcc_lo, v45, v31, vcc_lo
	v_add_co_ci_u32_e32 v49, vcc_lo, 0, v49, vcc_lo
	s_delay_alu instid0(VALU_DEP_1) | instskip(NEXT) | instid1(VALU_DEP_1)
	v_add_nc_u64_e32 v[30:31], v[50:51], v[48:49]
	v_mul_u64_e32 v[44:45], s[42:43], v[30:31]
	s_delay_alu instid0(VALU_DEP_1) | instskip(NEXT) | instid1(VALU_DEP_2)
	v_sub_nc_u32_e32 v1, v46, v45
	v_sub_co_u32 v15, vcc_lo, v42, v44
	s_delay_alu instid0(VALU_DEP_1) | instskip(NEXT) | instid1(VALU_DEP_3)
	v_sub_co_ci_u32_e64 v27, null, v46, v45, vcc_lo
	v_subrev_co_ci_u32_e64 v1, null, s43, v1, vcc_lo
	s_delay_alu instid0(VALU_DEP_3) | instskip(SKIP_1) | instid1(VALU_DEP_3)
	v_sub_co_u32 v17, s3, v15, s42
	v_add_nc_u64_e32 v[42:43], 2, v[30:31]
	v_subrev_co_ci_u32_e64 v1, null, 0, v1, s3
	s_delay_alu instid0(VALU_DEP_3) | instskip(SKIP_2) | instid1(VALU_DEP_4)
	v_cmp_le_u32_e32 vcc_lo, s42, v17
	v_add_nc_u64_e32 v[44:45], 1, v[30:31]
	v_cndmask_b32_e64 v17, 0, -1, vcc_lo
	v_cmp_le_u32_e32 vcc_lo, s43, v1
	v_cndmask_b32_e64 v29, 0, -1, vcc_lo
	v_cmp_le_u32_e32 vcc_lo, s42, v15
	;; [unrolled: 2-line block ×3, first 2 shown]
	v_cndmask_b32_e64 v33, 0, -1, vcc_lo
	v_cmp_eq_u32_e32 vcc_lo, s43, v1
	v_cndmask_b32_e32 v1, v29, v17, vcc_lo
	v_cmp_eq_u32_e32 vcc_lo, s43, v27
	s_delay_alu instid0(VALU_DEP_4) | instskip(NEXT) | instid1(VALU_DEP_3)
	v_cndmask_b32_e32 v15, v33, v15, vcc_lo
	v_cmp_ne_u32_e32 vcc_lo, 0, v1
	v_mov_b32_e32 v33, v32
	s_delay_alu instid0(VALU_DEP_3) | instskip(SKIP_1) | instid1(VALU_DEP_1)
	v_cmp_ne_u32_e64 s3, 0, v15
	v_dual_cndmask_b32 v1, v45, v43, vcc_lo :: v_dual_cndmask_b32 v15, v44, v42, vcc_lo
	v_dual_cndmask_b32 v1, v31, v1, s3 :: v_dual_cndmask_b32 v15, v30, v15, s3
	s_delay_alu instid0(VALU_DEP_1) | instskip(NEXT) | instid1(VALU_DEP_2)
	v_xor_b32_e32 v31, v1, v32
	v_xor_b32_e32 v30, v15, v32
                                        ; implicit-def: $vgpr15
	s_delay_alu instid0(VALU_DEP_1)
	v_sub_nc_u64_e32 v[32:33], v[30:31], v[32:33]
                                        ; implicit-def: $vgpr30_vgpr31
.LBB8_79:                               ;   in Loop: Header=BB8_69 Depth=5
	s_and_not1_saveexec_b32 s3, s48
	s_cbranch_execz .LBB8_68
; %bb.80:                               ;   in Loop: Header=BB8_69 Depth=5
	v_rcp_iflag_f32_e32 v1, v15
	s_sub_co_i32 s14, 0, s22
	v_nop
	s_delay_alu instid0(TRANS32_DEP_1) | instskip(NEXT) | instid1(VALU_DEP_1)
	v_mul_f32_e32 v1, 0x4f7ffffe, v1
	v_cvt_u32_f32_e32 v1, v1
	s_delay_alu instid0(VALU_DEP_1) | instskip(NEXT) | instid1(VALU_DEP_1)
	v_mul_lo_u32 v15, s14, v1
	v_mul_hi_u32 v15, v1, v15
	s_delay_alu instid0(VALU_DEP_1) | instskip(NEXT) | instid1(VALU_DEP_1)
	v_add_nc_u32_e32 v1, v1, v15
	v_mul_hi_u32 v1, v30, v1
	s_delay_alu instid0(VALU_DEP_1) | instskip(NEXT) | instid1(VALU_DEP_1)
	v_mul_lo_u32 v15, v1, s22
	v_sub_nc_u32_e32 v15, v30, v15
	s_delay_alu instid0(VALU_DEP_1) | instskip(SKIP_1) | instid1(VALU_DEP_2)
	v_subrev_nc_u32_e32 v27, s22, v15
	v_cmp_le_u32_e32 vcc_lo, s22, v15
	v_dual_add_nc_u32 v17, 1, v1 :: v_dual_cndmask_b32 v15, v15, v27, vcc_lo
	s_delay_alu instid0(VALU_DEP_1) | instskip(NEXT) | instid1(VALU_DEP_2)
	v_cndmask_b32_e32 v1, v1, v17, vcc_lo
	v_cmp_le_u32_e32 vcc_lo, s22, v15
	s_delay_alu instid0(VALU_DEP_2) | instskip(NEXT) | instid1(VALU_DEP_1)
	v_add_nc_u32_e32 v17, 1, v1
	v_cndmask_b32_e32 v32, v1, v17, vcc_lo
	s_branch .LBB8_68
.LBB8_81:                               ;   in Loop: Header=BB8_42 Depth=3
                                        ; implicit-def: $sgpr40_sgpr41
	v_cvt_f32_u32_e32 v1, s12
	s_delay_alu instid0(VALU_DEP_1)
	v_rcp_iflag_f32_e32 v1, v1
	s_branch .LBB8_44
.LBB8_82:                               ;   in Loop: Header=BB8_42 Depth=3
                                        ; implicit-def: $sgpr42_sgpr43
	s_branch .LBB8_47
.LBB8_83:                               ;   in Loop: Header=BB8_42 Depth=3
                                        ; implicit-def: $sgpr46_sgpr47
	s_branch .LBB8_50
.LBB8_84:
	s_endpgm
.LBB8_85:
                                        ; implicit-def: $sgpr14_sgpr15
	v_cvt_f32_u32_e32 v1, s10
	s_branch .LBB8_2
.LBB8_86:
                                        ; implicit-def: $sgpr20_sgpr21
	s_branch .LBB8_5
.LBB8_87:
                                        ; implicit-def: $sgpr24_sgpr25
	s_load_b32 s21, s[0:1], 0x3c
	s_branch .LBB8_8
	.section	.rodata,"a",@progbits
	.p2align	6, 0x0
	.amdhsa_kernel _ZN2at6native12_GLOBAL__N_124adaptiveaveragegradinputIddEEvPT_PKS3_iiiiiil
		.amdhsa_group_segment_fixed_size 0
		.amdhsa_private_segment_fixed_size 0
		.amdhsa_kernarg_size 304
		.amdhsa_user_sgpr_count 2
		.amdhsa_user_sgpr_dispatch_ptr 0
		.amdhsa_user_sgpr_queue_ptr 0
		.amdhsa_user_sgpr_kernarg_segment_ptr 1
		.amdhsa_user_sgpr_dispatch_id 0
		.amdhsa_user_sgpr_kernarg_preload_length 0
		.amdhsa_user_sgpr_kernarg_preload_offset 0
		.amdhsa_user_sgpr_private_segment_size 0
		.amdhsa_wavefront_size32 1
		.amdhsa_uses_dynamic_stack 0
		.amdhsa_enable_private_segment 0
		.amdhsa_system_sgpr_workgroup_id_x 1
		.amdhsa_system_sgpr_workgroup_id_y 1
		.amdhsa_system_sgpr_workgroup_id_z 0
		.amdhsa_system_sgpr_workgroup_info 0
		.amdhsa_system_vgpr_workitem_id 1
		.amdhsa_next_free_vgpr 52
		.amdhsa_next_free_sgpr 68
		.amdhsa_named_barrier_count 0
		.amdhsa_reserve_vcc 1
		.amdhsa_float_round_mode_32 0
		.amdhsa_float_round_mode_16_64 0
		.amdhsa_float_denorm_mode_32 3
		.amdhsa_float_denorm_mode_16_64 3
		.amdhsa_fp16_overflow 0
		.amdhsa_memory_ordered 1
		.amdhsa_forward_progress 1
		.amdhsa_inst_pref_size 107
		.amdhsa_round_robin_scheduling 0
		.amdhsa_exception_fp_ieee_invalid_op 0
		.amdhsa_exception_fp_denorm_src 0
		.amdhsa_exception_fp_ieee_div_zero 0
		.amdhsa_exception_fp_ieee_overflow 0
		.amdhsa_exception_fp_ieee_underflow 0
		.amdhsa_exception_fp_ieee_inexact 0
		.amdhsa_exception_int_div_zero 0
	.end_amdhsa_kernel
	.section	.text._ZN2at6native12_GLOBAL__N_124adaptiveaveragegradinputIddEEvPT_PKS3_iiiiiil,"axG",@progbits,_ZN2at6native12_GLOBAL__N_124adaptiveaveragegradinputIddEEvPT_PKS3_iiiiiil,comdat
.Lfunc_end8:
	.size	_ZN2at6native12_GLOBAL__N_124adaptiveaveragegradinputIddEEvPT_PKS3_iiiiiil, .Lfunc_end8-_ZN2at6native12_GLOBAL__N_124adaptiveaveragegradinputIddEEvPT_PKS3_iiiiiil
                                        ; -- End function
	.set _ZN2at6native12_GLOBAL__N_124adaptiveaveragegradinputIddEEvPT_PKS3_iiiiiil.num_vgpr, 52
	.set _ZN2at6native12_GLOBAL__N_124adaptiveaveragegradinputIddEEvPT_PKS3_iiiiiil.num_agpr, 0
	.set _ZN2at6native12_GLOBAL__N_124adaptiveaveragegradinputIddEEvPT_PKS3_iiiiiil.numbered_sgpr, 68
	.set _ZN2at6native12_GLOBAL__N_124adaptiveaveragegradinputIddEEvPT_PKS3_iiiiiil.num_named_barrier, 0
	.set _ZN2at6native12_GLOBAL__N_124adaptiveaveragegradinputIddEEvPT_PKS3_iiiiiil.private_seg_size, 0
	.set _ZN2at6native12_GLOBAL__N_124adaptiveaveragegradinputIddEEvPT_PKS3_iiiiiil.uses_vcc, 1
	.set _ZN2at6native12_GLOBAL__N_124adaptiveaveragegradinputIddEEvPT_PKS3_iiiiiil.uses_flat_scratch, 0
	.set _ZN2at6native12_GLOBAL__N_124adaptiveaveragegradinputIddEEvPT_PKS3_iiiiiil.has_dyn_sized_stack, 0
	.set _ZN2at6native12_GLOBAL__N_124adaptiveaveragegradinputIddEEvPT_PKS3_iiiiiil.has_recursion, 0
	.set _ZN2at6native12_GLOBAL__N_124adaptiveaveragegradinputIddEEvPT_PKS3_iiiiiil.has_indirect_call, 0
	.section	.AMDGPU.csdata,"",@progbits
; Kernel info:
; codeLenInByte = 13652
; TotalNumSgprs: 70
; NumVgprs: 52
; ScratchSize: 0
; MemoryBound: 0
; FloatMode: 240
; IeeeMode: 1
; LDSByteSize: 0 bytes/workgroup (compile time only)
; SGPRBlocks: 0
; VGPRBlocks: 3
; NumSGPRsForWavesPerEU: 70
; NumVGPRsForWavesPerEU: 52
; NamedBarCnt: 0
; Occupancy: 16
; WaveLimiterHint : 0
; COMPUTE_PGM_RSRC2:SCRATCH_EN: 0
; COMPUTE_PGM_RSRC2:USER_SGPR: 2
; COMPUTE_PGM_RSRC2:TRAP_HANDLER: 0
; COMPUTE_PGM_RSRC2:TGID_X_EN: 1
; COMPUTE_PGM_RSRC2:TGID_Y_EN: 1
; COMPUTE_PGM_RSRC2:TGID_Z_EN: 0
; COMPUTE_PGM_RSRC2:TIDIG_COMP_CNT: 1
	.section	.text._ZN2at6native12_GLOBAL__N_124adaptiveaveragegradinputIffEEvPT_PKS3_iiiiiil,"axG",@progbits,_ZN2at6native12_GLOBAL__N_124adaptiveaveragegradinputIffEEvPT_PKS3_iiiiiil,comdat
	.globl	_ZN2at6native12_GLOBAL__N_124adaptiveaveragegradinputIffEEvPT_PKS3_iiiiiil ; -- Begin function _ZN2at6native12_GLOBAL__N_124adaptiveaveragegradinputIffEEvPT_PKS3_iiiiiil
	.p2align	8
	.type	_ZN2at6native12_GLOBAL__N_124adaptiveaveragegradinputIffEEvPT_PKS3_iiiiiil,@function
_ZN2at6native12_GLOBAL__N_124adaptiveaveragegradinputIffEEvPT_PKS3_iiiiiil: ; @_ZN2at6native12_GLOBAL__N_124adaptiveaveragegradinputIffEEvPT_PKS3_iiiiiil
; %bb.0:
	s_load_b256 s[4:11], s[0:1], 0x10
	s_bfe_u32 s2, ttmp6, 0x4000c
	s_and_b32 s3, ttmp6, 15
	s_add_co_i32 s2, s2, 1
	s_getreg_b32 s26, hwreg(HW_REG_IB_STS2, 6, 4)
	s_mul_i32 s2, ttmp9, s2
	s_mov_b32 s13, 0
	s_add_co_i32 s3, s3, s2
	s_cmp_eq_u32 s26, 0
	s_cselect_b32 s12, ttmp9, s3
	s_wait_kmcnt 0x0
	s_add_nc_u64 s[2:3], s[10:11], s[12:13]
	s_ashr_i32 s11, s4, 31
	s_mov_b32 s10, s4
	s_delay_alu instid0(SALU_CYCLE_1) | instskip(NEXT) | instid1(SALU_CYCLE_1)
	s_or_b64 s[14:15], s[2:3], s[10:11]
	s_and_b64 s[14:15], s[14:15], 0xffffffff00000000
	s_delay_alu instid0(SALU_CYCLE_1)
	s_cmp_lg_u64 s[14:15], 0
	s_cbranch_scc0 .LBB9_85
; %bb.1:
	s_ashr_i32 s14, s11, 31
	s_delay_alu instid0(SALU_CYCLE_1) | instskip(NEXT) | instid1(SALU_CYCLE_1)
	s_mov_b32 s15, s14
	s_add_nc_u64 s[16:17], s[10:11], s[14:15]
	s_delay_alu instid0(SALU_CYCLE_1) | instskip(NEXT) | instid1(SALU_CYCLE_1)
	s_xor_b64 s[16:17], s[16:17], s[14:15]
	s_cvt_f32_u32 s4, s16
	s_cvt_f32_u32 s12, s17
	s_sub_nc_u64 s[20:21], 0, s[16:17]
	s_delay_alu instid0(SALU_CYCLE_2) | instskip(NEXT) | instid1(SALU_CYCLE_3)
	s_fmamk_f32 s4, s12, 0x4f800000, s4
	v_s_rcp_f32 s4, s4
	s_delay_alu instid0(TRANS32_DEP_1) | instskip(NEXT) | instid1(SALU_CYCLE_3)
	s_mul_f32 s4, s4, 0x5f7ffffc
	s_mul_f32 s12, s4, 0x2f800000
	s_delay_alu instid0(SALU_CYCLE_3) | instskip(NEXT) | instid1(SALU_CYCLE_3)
	s_trunc_f32 s12, s12
	s_fmamk_f32 s4, s12, 0xcf800000, s4
	s_cvt_u32_f32 s19, s12
	s_delay_alu instid0(SALU_CYCLE_2) | instskip(NEXT) | instid1(SALU_CYCLE_3)
	s_cvt_u32_f32 s18, s4
	s_mul_u64 s[22:23], s[20:21], s[18:19]
	s_delay_alu instid0(SALU_CYCLE_1)
	s_mul_hi_u32 s25, s18, s23
	s_mul_i32 s24, s18, s23
	s_mul_hi_u32 s12, s18, s22
	s_mul_i32 s27, s19, s22
	s_add_nc_u64 s[24:25], s[12:13], s[24:25]
	s_mul_hi_u32 s4, s19, s22
	s_mul_hi_u32 s28, s19, s23
	s_add_co_u32 s12, s24, s27
	s_add_co_ci_u32 s12, s25, s4
	s_mul_i32 s22, s19, s23
	s_add_co_ci_u32 s23, s28, 0
	s_delay_alu instid0(SALU_CYCLE_1) | instskip(NEXT) | instid1(SALU_CYCLE_1)
	s_add_nc_u64 s[22:23], s[12:13], s[22:23]
	s_add_co_u32 s18, s18, s22
	s_cselect_b32 s4, -1, 0
	s_delay_alu instid0(SALU_CYCLE_1) | instskip(SKIP_1) | instid1(SALU_CYCLE_1)
	s_cmp_lg_u32 s4, 0
	s_add_co_ci_u32 s19, s19, s23
	s_mul_u64 s[20:21], s[20:21], s[18:19]
	s_delay_alu instid0(SALU_CYCLE_1)
	s_mul_hi_u32 s23, s18, s21
	s_mul_i32 s22, s18, s21
	s_mul_hi_u32 s12, s18, s20
	s_mul_i32 s24, s19, s20
	s_add_nc_u64 s[22:23], s[12:13], s[22:23]
	s_mul_hi_u32 s4, s19, s20
	s_mul_hi_u32 s25, s19, s21
	s_add_co_u32 s12, s22, s24
	s_add_co_ci_u32 s12, s23, s4
	s_mul_i32 s20, s19, s21
	s_add_co_ci_u32 s21, s25, 0
	s_delay_alu instid0(SALU_CYCLE_1) | instskip(NEXT) | instid1(SALU_CYCLE_1)
	s_add_nc_u64 s[20:21], s[12:13], s[20:21]
	s_add_co_u32 s4, s18, s20
	s_cselect_b32 s12, -1, 0
	s_delay_alu instid0(SALU_CYCLE_1) | instskip(SKIP_2) | instid1(SALU_CYCLE_1)
	s_cmp_lg_u32 s12, 0
	s_add_co_ci_u32 s24, s19, s21
	s_ashr_i32 s18, s3, 31
	s_mov_b32 s19, s18
	s_delay_alu instid0(SALU_CYCLE_1) | instskip(NEXT) | instid1(SALU_CYCLE_1)
	s_add_nc_u64 s[20:21], s[2:3], s[18:19]
	s_xor_b64 s[20:21], s[20:21], s[18:19]
	s_delay_alu instid0(SALU_CYCLE_1)
	s_mul_hi_u32 s23, s20, s24
	s_mul_i32 s22, s20, s24
	s_mul_hi_u32 s12, s20, s4
	s_mul_hi_u32 s27, s21, s4
	s_mul_i32 s4, s21, s4
	s_add_nc_u64 s[22:23], s[12:13], s[22:23]
	s_mul_hi_u32 s25, s21, s24
	s_add_co_u32 s4, s22, s4
	s_add_co_ci_u32 s12, s23, s27
	s_mul_i32 s24, s21, s24
	s_add_co_ci_u32 s25, s25, 0
	s_delay_alu instid0(SALU_CYCLE_1) | instskip(NEXT) | instid1(SALU_CYCLE_1)
	s_add_nc_u64 s[22:23], s[12:13], s[24:25]
	s_and_b64 s[24:25], s[22:23], 0xffffffff00000000
	s_delay_alu instid0(SALU_CYCLE_1) | instskip(NEXT) | instid1(SALU_CYCLE_1)
	s_or_b32 s24, s24, s22
	s_mul_u64 s[22:23], s[16:17], s[24:25]
	s_add_nc_u64 s[28:29], s[24:25], 1
	s_sub_co_u32 s4, s20, s22
	s_cselect_b32 s12, -1, 0
	s_sub_co_i32 s20, s21, s23
	s_cmp_lg_u32 s12, 0
	s_add_nc_u64 s[30:31], s[24:25], 2
	s_sub_co_ci_u32 s20, s20, s17
	s_sub_co_u32 s22, s4, s16
	s_cselect_b32 s27, -1, 0
	s_delay_alu instid0(SALU_CYCLE_1) | instskip(SKIP_1) | instid1(SALU_CYCLE_1)
	s_cmp_lg_u32 s27, 0
	s_sub_co_ci_u32 s20, s20, 0
	s_cmp_ge_u32 s20, s17
	s_cselect_b32 s27, -1, 0
	s_cmp_ge_u32 s22, s16
	s_cselect_b32 s22, -1, 0
	s_cmp_eq_u32 s20, s17
	s_cselect_b32 s20, s22, s27
	s_delay_alu instid0(SALU_CYCLE_1) | instskip(SKIP_4) | instid1(SALU_CYCLE_1)
	s_cmp_lg_u32 s20, 0
	s_cselect_b32 s20, s30, s28
	s_cselect_b32 s22, s31, s29
	s_cmp_lg_u32 s12, 0
	s_sub_co_ci_u32 s12, s21, s23
	s_cmp_ge_u32 s12, s17
	s_cselect_b32 s21, -1, 0
	s_cmp_ge_u32 s4, s16
	s_cselect_b32 s4, -1, 0
	s_cmp_eq_u32 s12, s17
	s_cselect_b32 s4, s4, s21
	s_delay_alu instid0(SALU_CYCLE_1) | instskip(SKIP_3) | instid1(SALU_CYCLE_1)
	s_cmp_lg_u32 s4, 0
	s_cselect_b32 s17, s22, s25
	s_cselect_b32 s16, s20, s24
	s_xor_b64 s[14:15], s[18:19], s[14:15]
	s_xor_b64 s[16:17], s[16:17], s[14:15]
	s_delay_alu instid0(SALU_CYCLE_1)
	s_sub_nc_u64 s[14:15], s[16:17], s[14:15]
	v_cvt_f32_u32_e32 v1, s10
	s_and_not1_b32 vcc_lo, exec_lo, s13
	s_cbranch_vccnz .LBB9_3
.LBB9_2:
	s_delay_alu instid0(VALU_DEP_1) | instskip(SKIP_3) | instid1(TRANS32_DEP_1)
	v_rcp_iflag_f32_e32 v2, v1
	s_sub_co_i32 s12, 0, s10
	s_mov_b32 s15, 0
	v_nop
	v_mul_f32_e32 v2, 0x4f7ffffe, v2
	s_delay_alu instid0(VALU_DEP_1) | instskip(NEXT) | instid1(VALU_DEP_1)
	v_cvt_u32_f32_e32 v2, v2
	v_readfirstlane_b32 s4, v2
	s_mul_i32 s12, s12, s4
	s_delay_alu instid0(SALU_CYCLE_1) | instskip(NEXT) | instid1(SALU_CYCLE_1)
	s_mul_hi_u32 s12, s4, s12
	s_add_co_i32 s4, s4, s12
	s_delay_alu instid0(SALU_CYCLE_1) | instskip(NEXT) | instid1(SALU_CYCLE_1)
	s_mul_hi_u32 s4, s2, s4
	s_mul_i32 s12, s4, s10
	s_add_co_i32 s13, s4, 1
	s_sub_co_i32 s12, s2, s12
	s_delay_alu instid0(SALU_CYCLE_1)
	s_sub_co_i32 s14, s12, s10
	s_cmp_ge_u32 s12, s10
	s_cselect_b32 s4, s13, s4
	s_cselect_b32 s12, s14, s12
	s_add_co_i32 s13, s4, 1
	s_cmp_ge_u32 s12, s10
	s_cselect_b32 s14, s13, s4
.LBB9_3:
	s_abs_i32 s4, s10
	s_mov_b32 s23, 0
	s_cvt_f32_u32 s12, s4
	s_sub_co_i32 s16, 0, s4
	s_delay_alu instid0(SALU_CYCLE_2) | instskip(SKIP_1) | instid1(TRANS32_DEP_1)
	v_rcp_iflag_f32_e32 v2, s12
	v_nop
	v_readfirstlane_b32 s12, v2
	s_mul_f32 s12, s12, 0x4f7ffffe
	s_delay_alu instid0(SALU_CYCLE_3) | instskip(SKIP_1) | instid1(SALU_CYCLE_2)
	s_cvt_u32_f32 s18, s12
	s_mul_u64 s[12:13], s[14:15], s[10:11]
	s_mul_i32 s15, s16, s18
	s_sub_nc_u64 s[16:17], s[2:3], s[12:13]
	s_mul_hi_u32 s12, s18, s15
	s_abs_i32 s15, s16
	s_add_co_i32 s18, s18, s12
	s_ashr_i32 s13, s7, 31
	s_mul_hi_u32 s12, s15, s18
	s_xor_b32 s18, s16, s10
	s_mul_i32 s19, s12, s4
	s_ashr_i32 s18, s18, 31
	s_sub_co_i32 s15, s15, s19
	s_add_co_i32 s19, s12, 1
	s_sub_co_i32 s20, s15, s4
	s_cmp_ge_u32 s15, s4
	s_cselect_b32 s12, s19, s12
	s_cselect_b32 s15, s20, s15
	s_add_co_i32 s19, s12, 1
	s_cmp_ge_u32 s15, s4
	s_cselect_b32 s4, s19, s12
	s_delay_alu instid0(SALU_CYCLE_1) | instskip(NEXT) | instid1(SALU_CYCLE_1)
	s_xor_b32 s4, s4, s18
	s_sub_co_i32 s4, s4, s18
	s_delay_alu instid0(SALU_CYCLE_1) | instskip(NEXT) | instid1(SALU_CYCLE_1)
	s_mul_i32 s12, s4, s10
	s_sub_co_i32 s18, s16, s12
	s_mov_b32 s12, s7
	s_ashr_i32 s19, s18, 31
	s_delay_alu instid0(SALU_CYCLE_1) | instskip(NEXT) | instid1(SALU_CYCLE_1)
	s_mul_u64 s[18:19], s[18:19], s[12:13]
	s_or_b64 s[20:21], s[18:19], s[10:11]
	s_delay_alu instid0(SALU_CYCLE_1) | instskip(NEXT) | instid1(SALU_CYCLE_1)
	s_and_b64 s[20:21], s[20:21], 0xffffffff00000000
	s_cmp_lg_u64 s[20:21], 0
	s_cbranch_scc0 .LBB9_86
; %bb.4:
	s_ashr_i32 s20, s11, 31
	s_delay_alu instid0(SALU_CYCLE_1) | instskip(NEXT) | instid1(SALU_CYCLE_1)
	s_mov_b32 s21, s20
	s_add_nc_u64 s[24:25], s[10:11], s[20:21]
	s_delay_alu instid0(SALU_CYCLE_1) | instskip(NEXT) | instid1(SALU_CYCLE_1)
	s_xor_b64 s[24:25], s[24:25], s[20:21]
	s_cvt_f32_u32 s15, s24
	s_cvt_f32_u32 s22, s25
	s_sub_nc_u64 s[30:31], 0, s[24:25]
	s_delay_alu instid0(SALU_CYCLE_2) | instskip(NEXT) | instid1(SALU_CYCLE_3)
	s_fmamk_f32 s15, s22, 0x4f800000, s15
	v_s_rcp_f32 s15, s15
	s_delay_alu instid0(TRANS32_DEP_1) | instskip(NEXT) | instid1(SALU_CYCLE_3)
	s_mul_f32 s15, s15, 0x5f7ffffc
	s_mul_f32 s22, s15, 0x2f800000
	s_delay_alu instid0(SALU_CYCLE_3) | instskip(NEXT) | instid1(SALU_CYCLE_3)
	s_trunc_f32 s22, s22
	s_fmamk_f32 s15, s22, 0xcf800000, s15
	s_cvt_u32_f32 s29, s22
	s_delay_alu instid0(SALU_CYCLE_2) | instskip(NEXT) | instid1(SALU_CYCLE_3)
	s_cvt_u32_f32 s28, s15
	s_mul_u64 s[34:35], s[30:31], s[28:29]
	s_delay_alu instid0(SALU_CYCLE_1)
	s_mul_hi_u32 s37, s28, s35
	s_mul_i32 s36, s28, s35
	s_mul_hi_u32 s22, s28, s34
	s_mul_i32 s27, s29, s34
	s_add_nc_u64 s[36:37], s[22:23], s[36:37]
	s_mul_hi_u32 s15, s29, s34
	s_mul_hi_u32 s33, s29, s35
	s_add_co_u32 s22, s36, s27
	s_add_co_ci_u32 s22, s37, s15
	s_mul_i32 s34, s29, s35
	s_add_co_ci_u32 s35, s33, 0
	s_delay_alu instid0(SALU_CYCLE_1) | instskip(NEXT) | instid1(SALU_CYCLE_1)
	s_add_nc_u64 s[34:35], s[22:23], s[34:35]
	s_add_co_u32 s28, s28, s34
	s_cselect_b32 s15, -1, 0
	s_delay_alu instid0(SALU_CYCLE_1) | instskip(SKIP_1) | instid1(SALU_CYCLE_1)
	s_cmp_lg_u32 s15, 0
	s_add_co_ci_u32 s29, s29, s35
	s_mul_u64 s[30:31], s[30:31], s[28:29]
	s_delay_alu instid0(SALU_CYCLE_1)
	s_mul_hi_u32 s35, s28, s31
	s_mul_i32 s34, s28, s31
	s_mul_hi_u32 s22, s28, s30
	s_mul_i32 s27, s29, s30
	s_add_nc_u64 s[34:35], s[22:23], s[34:35]
	s_mul_hi_u32 s15, s29, s30
	s_mul_hi_u32 s33, s29, s31
	s_add_co_u32 s22, s34, s27
	s_add_co_ci_u32 s22, s35, s15
	s_mul_i32 s30, s29, s31
	s_add_co_ci_u32 s31, s33, 0
	s_delay_alu instid0(SALU_CYCLE_1) | instskip(NEXT) | instid1(SALU_CYCLE_1)
	s_add_nc_u64 s[30:31], s[22:23], s[30:31]
	s_add_co_u32 s15, s28, s30
	s_cselect_b32 s22, -1, 0
	s_delay_alu instid0(SALU_CYCLE_1) | instskip(SKIP_2) | instid1(SALU_CYCLE_1)
	s_cmp_lg_u32 s22, 0
	s_add_co_ci_u32 s27, s29, s31
	s_ashr_i32 s28, s19, 31
	s_mov_b32 s29, s28
	s_delay_alu instid0(SALU_CYCLE_1) | instskip(NEXT) | instid1(SALU_CYCLE_1)
	s_add_nc_u64 s[30:31], s[18:19], s[28:29]
	s_xor_b64 s[30:31], s[30:31], s[28:29]
	s_delay_alu instid0(SALU_CYCLE_1)
	s_mul_hi_u32 s35, s30, s27
	s_mul_i32 s34, s30, s27
	s_mul_hi_u32 s22, s30, s15
	s_mul_hi_u32 s33, s31, s15
	s_mul_i32 s15, s31, s15
	s_add_nc_u64 s[34:35], s[22:23], s[34:35]
	s_mul_hi_u32 s19, s31, s27
	s_add_co_u32 s15, s34, s15
	s_add_co_ci_u32 s22, s35, s33
	s_mul_i32 s36, s31, s27
	s_add_co_ci_u32 s37, s19, 0
	s_delay_alu instid0(SALU_CYCLE_1) | instskip(NEXT) | instid1(SALU_CYCLE_1)
	s_add_nc_u64 s[34:35], s[22:23], s[36:37]
	s_and_b64 s[36:37], s[34:35], 0xffffffff00000000
	s_delay_alu instid0(SALU_CYCLE_1) | instskip(NEXT) | instid1(SALU_CYCLE_1)
	s_or_b32 s36, s36, s34
	s_mul_u64 s[34:35], s[24:25], s[36:37]
	s_add_nc_u64 s[38:39], s[36:37], 1
	s_sub_co_u32 s15, s30, s34
	s_cselect_b32 s19, -1, 0
	s_sub_co_i32 s22, s31, s35
	s_cmp_lg_u32 s19, 0
	s_add_nc_u64 s[40:41], s[36:37], 2
	s_sub_co_ci_u32 s22, s22, s25
	s_sub_co_u32 s27, s15, s24
	s_cselect_b32 s30, -1, 0
	s_delay_alu instid0(SALU_CYCLE_1) | instskip(SKIP_1) | instid1(SALU_CYCLE_1)
	s_cmp_lg_u32 s30, 0
	s_sub_co_ci_u32 s22, s22, 0
	s_cmp_ge_u32 s22, s25
	s_cselect_b32 s30, -1, 0
	s_cmp_ge_u32 s27, s24
	s_cselect_b32 s27, -1, 0
	s_cmp_eq_u32 s22, s25
	s_cselect_b32 s22, s27, s30
	s_delay_alu instid0(SALU_CYCLE_1) | instskip(SKIP_4) | instid1(SALU_CYCLE_1)
	s_cmp_lg_u32 s22, 0
	s_cselect_b32 s22, s40, s38
	s_cselect_b32 s27, s41, s39
	s_cmp_lg_u32 s19, 0
	s_sub_co_ci_u32 s19, s31, s35
	s_cmp_ge_u32 s19, s25
	s_cselect_b32 s30, -1, 0
	s_cmp_ge_u32 s15, s24
	s_cselect_b32 s15, -1, 0
	s_cmp_eq_u32 s19, s25
	s_cselect_b32 s15, s15, s30
	s_delay_alu instid0(SALU_CYCLE_1) | instskip(SKIP_3) | instid1(SALU_CYCLE_1)
	s_cmp_lg_u32 s15, 0
	s_cselect_b32 s25, s27, s37
	s_cselect_b32 s24, s22, s36
	s_xor_b64 s[20:21], s[28:29], s[20:21]
	s_xor_b64 s[24:25], s[24:25], s[20:21]
	s_delay_alu instid0(SALU_CYCLE_1)
	s_sub_nc_u64 s[20:21], s[24:25], s[20:21]
	s_and_not1_b32 vcc_lo, exec_lo, s23
	s_cbranch_vccnz .LBB9_6
.LBB9_5:
	v_rcp_iflag_f32_e32 v2, v1
	s_sub_co_i32 s19, 0, s10
	v_nop
	s_delay_alu instid0(TRANS32_DEP_1) | instskip(NEXT) | instid1(VALU_DEP_1)
	v_mul_f32_e32 v2, 0x4f7ffffe, v2
	v_cvt_u32_f32_e32 v2, v2
	s_delay_alu instid0(VALU_DEP_1) | instskip(SKIP_1) | instid1(SALU_CYCLE_1)
	v_readfirstlane_b32 s15, v2
	s_mul_i32 s19, s19, s15
	s_mul_hi_u32 s19, s15, s19
	s_delay_alu instid0(SALU_CYCLE_1) | instskip(NEXT) | instid1(SALU_CYCLE_1)
	s_add_co_i32 s15, s15, s19
	s_mul_hi_u32 s15, s18, s15
	s_delay_alu instid0(SALU_CYCLE_1) | instskip(NEXT) | instid1(SALU_CYCLE_1)
	s_mul_i32 s19, s15, s10
	s_sub_co_i32 s18, s18, s19
	s_add_co_i32 s19, s15, 1
	s_sub_co_i32 s20, s18, s10
	s_cmp_ge_u32 s18, s10
	s_cselect_b32 s15, s19, s15
	s_cselect_b32 s18, s20, s18
	s_add_co_i32 s19, s15, 1
	s_cmp_ge_u32 s18, s10
	s_cselect_b32 s20, s19, s15
.LBB9_6:
	s_add_nc_u64 s[16:17], s[16:17], 1
	s_delay_alu instid0(SALU_CYCLE_1) | instskip(NEXT) | instid1(SALU_CYCLE_1)
	s_mul_u64 s[16:17], s[16:17], s[12:13]
	s_add_nc_u64 s[16:17], s[16:17], -1
	s_delay_alu instid0(SALU_CYCLE_1) | instskip(NEXT) | instid1(SALU_CYCLE_1)
	s_or_b64 s[18:19], s[16:17], s[10:11]
	s_and_b64 s[18:19], s[18:19], 0xffffffff00000000
	s_delay_alu instid0(SALU_CYCLE_1)
	s_cmp_lg_u64 s[18:19], 0
	s_cbranch_scc0 .LBB9_87
; %bb.7:
	s_ashr_i32 s18, s11, 31
	s_delay_alu instid0(SALU_CYCLE_1) | instskip(NEXT) | instid1(SALU_CYCLE_1)
	s_mov_b32 s19, s18
	s_add_nc_u64 s[22:23], s[10:11], s[18:19]
	s_delay_alu instid0(SALU_CYCLE_1) | instskip(SKIP_4) | instid1(SALU_CYCLE_2)
	s_xor_b64 s[24:25], s[22:23], s[18:19]
	s_mov_b32 s23, 0
	s_cvt_f32_u32 s15, s24
	s_cvt_f32_u32 s21, s25
	s_sub_nc_u64 s[30:31], 0, s[24:25]
	s_fmamk_f32 s15, s21, 0x4f800000, s15
	s_delay_alu instid0(SALU_CYCLE_3) | instskip(NEXT) | instid1(TRANS32_DEP_1)
	v_s_rcp_f32 s15, s15
	s_mul_f32 s15, s15, 0x5f7ffffc
	s_delay_alu instid0(SALU_CYCLE_3) | instskip(NEXT) | instid1(SALU_CYCLE_3)
	s_mul_f32 s21, s15, 0x2f800000
	s_trunc_f32 s21, s21
	s_delay_alu instid0(SALU_CYCLE_3) | instskip(SKIP_1) | instid1(SALU_CYCLE_2)
	s_fmamk_f32 s15, s21, 0xcf800000, s15
	s_cvt_u32_f32 s29, s21
	s_cvt_u32_f32 s28, s15
	s_delay_alu instid0(SALU_CYCLE_3) | instskip(NEXT) | instid1(SALU_CYCLE_1)
	s_mul_u64 s[34:35], s[30:31], s[28:29]
	s_mul_hi_u32 s37, s28, s35
	s_mul_i32 s36, s28, s35
	s_mul_hi_u32 s22, s28, s34
	s_mul_i32 s21, s29, s34
	s_add_nc_u64 s[36:37], s[22:23], s[36:37]
	s_mul_hi_u32 s15, s29, s34
	s_mul_hi_u32 s27, s29, s35
	s_add_co_u32 s21, s36, s21
	s_add_co_ci_u32 s22, s37, s15
	s_mul_i32 s34, s29, s35
	s_add_co_ci_u32 s35, s27, 0
	s_delay_alu instid0(SALU_CYCLE_1) | instskip(NEXT) | instid1(SALU_CYCLE_1)
	s_add_nc_u64 s[34:35], s[22:23], s[34:35]
	s_add_co_u32 s28, s28, s34
	s_cselect_b32 s15, -1, 0
	s_delay_alu instid0(SALU_CYCLE_1) | instskip(SKIP_1) | instid1(SALU_CYCLE_1)
	s_cmp_lg_u32 s15, 0
	s_add_co_ci_u32 s29, s29, s35
	s_mul_u64 s[30:31], s[30:31], s[28:29]
	s_delay_alu instid0(SALU_CYCLE_1)
	s_mul_hi_u32 s35, s28, s31
	s_mul_i32 s34, s28, s31
	s_mul_hi_u32 s22, s28, s30
	s_mul_i32 s21, s29, s30
	s_add_nc_u64 s[34:35], s[22:23], s[34:35]
	s_mul_hi_u32 s15, s29, s30
	s_mul_hi_u32 s27, s29, s31
	s_add_co_u32 s21, s34, s21
	s_add_co_ci_u32 s22, s35, s15
	s_mul_i32 s30, s29, s31
	s_add_co_ci_u32 s31, s27, 0
	s_delay_alu instid0(SALU_CYCLE_1) | instskip(NEXT) | instid1(SALU_CYCLE_1)
	s_add_nc_u64 s[30:31], s[22:23], s[30:31]
	s_add_co_u32 s15, s28, s30
	s_cselect_b32 s21, -1, 0
	s_delay_alu instid0(SALU_CYCLE_1) | instskip(SKIP_2) | instid1(SALU_CYCLE_1)
	s_cmp_lg_u32 s21, 0
	s_add_co_ci_u32 s21, s29, s31
	s_ashr_i32 s28, s17, 31
	s_mov_b32 s29, s28
	s_delay_alu instid0(SALU_CYCLE_1) | instskip(NEXT) | instid1(SALU_CYCLE_1)
	s_add_nc_u64 s[30:31], s[16:17], s[28:29]
	s_xor_b64 s[30:31], s[30:31], s[28:29]
	s_delay_alu instid0(SALU_CYCLE_1)
	s_mul_hi_u32 s35, s30, s21
	s_mul_i32 s34, s30, s21
	s_mul_hi_u32 s22, s30, s15
	s_mul_hi_u32 s27, s31, s15
	s_mul_i32 s15, s31, s15
	s_add_nc_u64 s[34:35], s[22:23], s[34:35]
	s_mul_hi_u32 s17, s31, s21
	s_add_co_u32 s15, s34, s15
	s_add_co_ci_u32 s22, s35, s27
	s_mul_i32 s36, s31, s21
	s_add_co_ci_u32 s37, s17, 0
	s_delay_alu instid0(SALU_CYCLE_1) | instskip(NEXT) | instid1(SALU_CYCLE_1)
	s_add_nc_u64 s[34:35], s[22:23], s[36:37]
	s_and_b64 s[36:37], s[34:35], 0xffffffff00000000
	s_delay_alu instid0(SALU_CYCLE_1) | instskip(NEXT) | instid1(SALU_CYCLE_1)
	s_or_b32 s36, s36, s34
	s_mul_u64 s[34:35], s[24:25], s[36:37]
	s_add_nc_u64 s[38:39], s[36:37], 1
	s_sub_co_u32 s15, s30, s34
	s_cselect_b32 s17, -1, 0
	s_sub_co_i32 s21, s31, s35
	s_cmp_lg_u32 s17, 0
	s_add_nc_u64 s[40:41], s[36:37], 2
	s_sub_co_ci_u32 s21, s21, s25
	s_sub_co_u32 s22, s15, s24
	s_cselect_b32 s27, -1, 0
	s_delay_alu instid0(SALU_CYCLE_1) | instskip(SKIP_1) | instid1(SALU_CYCLE_1)
	s_cmp_lg_u32 s27, 0
	s_sub_co_ci_u32 s21, s21, 0
	s_cmp_ge_u32 s21, s25
	s_cselect_b32 s27, -1, 0
	s_cmp_ge_u32 s22, s24
	s_cselect_b32 s22, -1, 0
	s_cmp_eq_u32 s21, s25
	s_cselect_b32 s21, s22, s27
	s_delay_alu instid0(SALU_CYCLE_1) | instskip(SKIP_4) | instid1(SALU_CYCLE_1)
	s_cmp_lg_u32 s21, 0
	s_cselect_b32 s21, s40, s38
	s_cselect_b32 s22, s41, s39
	s_cmp_lg_u32 s17, 0
	s_sub_co_ci_u32 s17, s31, s35
	s_cmp_ge_u32 s17, s25
	s_cselect_b32 s27, -1, 0
	s_cmp_ge_u32 s15, s24
	s_cselect_b32 s15, -1, 0
	s_cmp_eq_u32 s17, s25
	s_cselect_b32 s15, s15, s27
	s_delay_alu instid0(SALU_CYCLE_1) | instskip(SKIP_3) | instid1(SALU_CYCLE_1)
	s_cmp_lg_u32 s15, 0
	s_cselect_b32 s25, s22, s37
	s_cselect_b32 s24, s21, s36
	s_xor_b64 s[18:19], s[28:29], s[18:19]
	s_xor_b64 s[24:25], s[24:25], s[18:19]
	s_delay_alu instid0(SALU_CYCLE_1)
	s_sub_nc_u64 s[24:25], s[24:25], s[18:19]
	s_load_b32 s21, s[0:1], 0x3c
	s_cbranch_execnz .LBB9_9
.LBB9_8:
	v_rcp_iflag_f32_e32 v1, v1
	s_sub_co_i32 s17, 0, s10
	v_nop
	s_delay_alu instid0(TRANS32_DEP_1) | instskip(NEXT) | instid1(VALU_DEP_1)
	v_mul_f32_e32 v1, 0x4f7ffffe, v1
	v_cvt_u32_f32_e32 v1, v1
	s_delay_alu instid0(VALU_DEP_1) | instskip(SKIP_1) | instid1(SALU_CYCLE_1)
	v_readfirstlane_b32 s15, v1
	s_mul_i32 s17, s17, s15
	s_mul_hi_u32 s17, s15, s17
	s_delay_alu instid0(SALU_CYCLE_1) | instskip(NEXT) | instid1(SALU_CYCLE_1)
	s_add_co_i32 s15, s15, s17
	s_mul_hi_u32 s15, s16, s15
	s_delay_alu instid0(SALU_CYCLE_1) | instskip(NEXT) | instid1(SALU_CYCLE_1)
	s_mul_i32 s17, s15, s10
	s_sub_co_i32 s16, s16, s17
	s_add_co_i32 s17, s15, 1
	s_sub_co_i32 s18, s16, s10
	s_cmp_ge_u32 s16, s10
	s_cselect_b32 s15, s17, s15
	s_cselect_b32 s16, s18, s16
	s_add_co_i32 s17, s15, 1
	s_cmp_ge_u32 s16, s10
	s_cselect_b32 s24, s17, s15
.LBB9_9:
	s_bfe_u32 s15, ttmp6, 0x40010
	s_bfe_u32 s16, ttmp6, 0x40004
	s_add_co_i32 s15, s15, 1
	s_wait_kmcnt 0x0
	s_lshr_b32 s28, s21, 16
	s_mul_i32 s15, ttmp7, s15
	v_bfe_u32 v1, v0, 10, 10
	s_add_co_i32 s16, s16, s15
	s_cmp_eq_u32 s26, 0
	s_cselect_b32 s15, ttmp7, s16
	s_mov_b32 s16, exec_lo
	v_mad_u32 v2, s15, s28, v1
	s_mov_b32 s15, 0
	s_delay_alu instid0(VALU_DEP_1)
	v_cmpx_gt_i32_e64 s5, v2
	s_cbranch_execz .LBB9_84
; %bb.10:
	s_mov_b32 s16, s5
	s_ashr_i32 s17, s5, 31
	v_cvt_f32_u32_e32 v1, s16
	s_ashr_i32 s19, s6, 31
	s_mov_b32 s18, s6
	s_mul_i32 s4, s4, s12
	s_mul_u64 s[22:23], s[18:19], s[16:17]
	v_rcp_iflag_f32_e32 v1, v1
	s_add_co_i32 s4, s20, s4
	s_mul_u64 s[2:3], s[22:23], s[2:3]
	s_mul_i32 s7, s7, s14
	s_add_co_i32 s33, s24, 1
	s_lshl_b64 s[2:3], s[2:3], 2
	s_add_co_i32 s14, s7, s4
	v_nop
	v_mul_f32_e32 v1, 0x4f7ffffe, v1
	s_and_b32 s7, s21, 0xffff
	s_ashr_i32 s21, s8, 31
	s_ashr_i32 s23, s9, 31
	v_and_b32_e32 v32, 0x3ff, v0
	v_mov_b32_e32 v0, 0
	v_cvt_u32_f32_e32 v1, v1
	s_cmp_gt_i32 s33, s4
	s_clause 0x1
	s_load_b32 s53, s[0:1], 0x34
	s_load_b128 s[36:39], s[0:1], 0x0
	s_cselect_b32 s50, -1, 0
	s_wait_xcnt 0x0
	s_sub_co_i32 s0, 0, s5
	s_ashr_i32 s51, s5, 31
	v_mul_lo_u32 v4, s0, v1
	s_add_co_i32 s20, s5, s51
	s_mul_i32 s30, s9, s8
	s_xor_b32 s52, s20, s51
	s_mul_i32 s26, s30, s14
	v_cvt_f32_u32_e32 v3, s52
	s_sub_co_i32 s1, 0, s52
	s_ashr_i32 s27, s26, 31
	v_cmp_gt_i32_e64 s0, s6, v32
	s_ashr_i32 s31, s30, 31
	v_rcp_iflag_f32_e32 v3, v3
	v_mul_hi_u32 v4, v1, v4
	s_lshl_b64 s[34:35], s[26:27], 2
	s_mov_b32 s20, s8
	s_mov_b32 s22, s9
	s_mov_b64 s[24:25], 0xffffffff
	s_wait_kmcnt 0x0
	s_add_nc_u64 s[26:27], s[36:37], s[2:3]
	v_mul_f32_e32 v3, 0x4f7ffffe, v3
	s_mul_i32 s53, s53, s28
	s_add_nc_u64 s[28:29], s[38:39], s[34:35]
	s_lshl_b64 s[30:31], s[30:31], 2
	s_ashr_i32 s34, s17, 31
	v_add_nc_u32_e32 v34, v1, v4
	v_cvt_u32_f32_e32 v3, v3
	s_mov_b32 s54, 0
	s_delay_alu instid0(VALU_DEP_1) | instskip(NEXT) | instid1(VALU_DEP_1)
	v_mul_lo_u32 v5, s1, v3
	v_mul_hi_u32 v5, v3, v5
	s_delay_alu instid0(VALU_DEP_1)
	v_add_nc_u32_e32 v33, v3, v5
	s_branch .LBB9_12
.LBB9_11:                               ;   in Loop: Header=BB9_12 Depth=1
	s_or_b32 exec_lo, exec_lo, s35
	v_add_nc_u32_e32 v2, s53, v2
	s_delay_alu instid0(VALU_DEP_1) | instskip(SKIP_1) | instid1(SALU_CYCLE_1)
	v_cmp_le_i32_e32 vcc_lo, s5, v2
	s_or_b32 s54, vcc_lo, s54
	s_and_not1_b32 exec_lo, exec_lo, s54
	s_cbranch_execz .LBB9_84
.LBB9_12:                               ; =>This Loop Header: Depth=1
                                        ;     Child Loop BB9_27 Depth 2
                                        ;       Child Loop BB9_42 Depth 3
                                        ;         Child Loop BB9_54 Depth 4
                                        ;           Child Loop BB9_69 Depth 5
	v_ashrrev_i32_e32 v3, 31, v2
	s_mov_b32 s1, exec_lo
                                        ; implicit-def: $vgpr4_vgpr5
	s_delay_alu instid0(VALU_DEP_1) | instskip(NEXT) | instid1(VALU_DEP_1)
	v_or_b32_e32 v1, s17, v3
	v_cmpx_ne_u64_e32 0, v[0:1]
	s_xor_b32 s1, exec_lo, s1
	s_cbranch_execz .LBB9_14
; %bb.13:                               ;   in Loop: Header=BB9_12 Depth=1
	v_ashrrev_i32_e32 v1, 31, v2
	s_delay_alu instid0(VALU_DEP_1) | instskip(NEXT) | instid1(VALU_DEP_1)
	v_add_nc_u32_e32 v4, v2, v1
	v_xor_b32_e32 v4, v4, v1
	s_delay_alu instid0(VALU_DEP_1) | instskip(NEXT) | instid1(VALU_DEP_1)
	v_mul_hi_u32 v5, v4, v33
	v_mul_lo_u32 v6, v5, s52
	s_delay_alu instid0(VALU_DEP_1) | instskip(SKIP_1) | instid1(VALU_DEP_2)
	v_dual_sub_nc_u32 v4, v4, v6 :: v_dual_add_nc_u32 v6, 1, v5
	v_xor_b32_e32 v1, s51, v1
	v_cmp_le_u32_e32 vcc_lo, s52, v4
	s_delay_alu instid0(VALU_DEP_3) | instskip(NEXT) | instid1(VALU_DEP_1)
	v_cndmask_b32_e32 v5, v5, v6, vcc_lo
	v_add_nc_u32_e32 v6, 1, v5
	v_subrev_nc_u32_e32 v7, s52, v4
	s_delay_alu instid0(VALU_DEP_1) | instskip(NEXT) | instid1(VALU_DEP_1)
	v_cndmask_b32_e32 v4, v4, v7, vcc_lo
	v_cmp_le_u32_e32 vcc_lo, s52, v4
	s_delay_alu instid0(VALU_DEP_4) | instskip(NEXT) | instid1(VALU_DEP_1)
	v_cndmask_b32_e32 v4, v5, v6, vcc_lo
	v_xor_b32_e32 v4, v4, v1
	s_delay_alu instid0(VALU_DEP_1) | instskip(NEXT) | instid1(VALU_DEP_1)
	v_sub_nc_u32_e32 v4, v4, v1
	v_ashrrev_i32_e32 v5, 31, v4
.LBB9_14:                               ;   in Loop: Header=BB9_12 Depth=1
	s_and_not1_saveexec_b32 s1, s1
	s_cbranch_execz .LBB9_16
; %bb.15:                               ;   in Loop: Header=BB9_12 Depth=1
	v_mul_hi_u32 v1, v2, v34
	s_delay_alu instid0(VALU_DEP_1) | instskip(NEXT) | instid1(VALU_DEP_1)
	v_mul_lo_u32 v4, v1, s16
	v_dual_add_nc_u32 v5, 1, v1 :: v_dual_sub_nc_u32 v4, v2, v4
	s_delay_alu instid0(VALU_DEP_1) | instskip(SKIP_1) | instid1(VALU_DEP_2)
	v_subrev_nc_u32_e32 v6, s16, v4
	v_cmp_le_u32_e32 vcc_lo, s16, v4
	v_dual_cndmask_b32 v4, v4, v6 :: v_dual_cndmask_b32 v1, v1, v5
	s_delay_alu instid0(VALU_DEP_1) | instskip(NEXT) | instid1(VALU_DEP_2)
	v_cmp_le_u32_e32 vcc_lo, s16, v4
	v_add_nc_u32_e32 v5, 1, v1
	s_delay_alu instid0(VALU_DEP_1)
	v_dual_cndmask_b32 v4, v1, v5 :: v_dual_mov_b32 v5, v0
.LBB9_16:                               ;   in Loop: Header=BB9_12 Depth=1
	s_or_b32 exec_lo, exec_lo, s1
	s_delay_alu instid0(VALU_DEP_1) | instskip(SKIP_1) | instid1(VALU_DEP_1)
	v_mul_u64_e32 v[6:7], s[16:17], v[4:5]
	s_mov_b32 s1, exec_lo
	v_sub_nc_u64_e32 v[6:7], v[2:3], v[6:7]
	s_delay_alu instid0(VALU_DEP_1) | instskip(NEXT) | instid1(VALU_DEP_1)
	v_mul_u64_e32 v[8:9], s[20:21], v[6:7]
                                        ; implicit-def: $vgpr6_vgpr7
	v_or_b32_e32 v1, s17, v9
	s_delay_alu instid0(VALU_DEP_1)
	v_cmpx_ne_u64_e32 0, v[0:1]
	s_xor_b32 s36, exec_lo, s1
	s_cbranch_execz .LBB9_18
; %bb.17:                               ;   in Loop: Header=BB9_12 Depth=1
	s_mov_b32 s35, s34
	v_dual_mov_b32 v11, v0 :: v_dual_ashrrev_i32 v6, 31, v9
	s_add_nc_u64 s[2:3], s[16:17], s[34:35]
	s_delay_alu instid0(SALU_CYCLE_1) | instskip(NEXT) | instid1(VALU_DEP_1)
	s_xor_b64 s[2:3], s[2:3], s[34:35]
	v_mov_b32_e32 v7, v6
	s_cvt_f32_u32 s1, s2
	s_cvt_f32_u32 s14, s3
	s_sub_nc_u64 s[40:41], 0, s[2:3]
	s_delay_alu instid0(VALU_DEP_1) | instskip(NEXT) | instid1(SALU_CYCLE_1)
	v_add_nc_u64_e32 v[8:9], v[8:9], v[6:7]
	s_fmamk_f32 s1, s14, 0x4f800000, s1
	v_mov_b32_e32 v15, v0
	s_delay_alu instid0(SALU_CYCLE_2) | instskip(NEXT) | instid1(VALU_DEP_2)
	v_s_rcp_f32 s1, s1
	v_xor_b32_e32 v10, v8, v6
	s_delay_alu instid0(VALU_DEP_3) | instskip(NEXT) | instid1(TRANS32_DEP_1)
	v_dual_mov_b32 v19, v0 :: v_dual_bitop2_b32 v14, v9, v6 bitop3:0x14
	s_mul_f32 s1, s1, 0x5f7ffffc
	s_delay_alu instid0(SALU_CYCLE_3) | instskip(NEXT) | instid1(SALU_CYCLE_3)
	s_mul_f32 s14, s1, 0x2f800000
	s_trunc_f32 s14, s14
	s_delay_alu instid0(SALU_CYCLE_3) | instskip(SKIP_1) | instid1(SALU_CYCLE_2)
	s_fmamk_f32 s1, s14, 0xcf800000, s1
	s_cvt_u32_f32 s39, s14
	s_cvt_u32_f32 s38, s1
	s_delay_alu instid0(SALU_CYCLE_3) | instskip(NEXT) | instid1(SALU_CYCLE_1)
	s_mul_u64 s[42:43], s[40:41], s[38:39]
	s_mul_hi_u32 s45, s38, s43
	s_mul_i32 s44, s38, s43
	s_mul_hi_u32 s14, s38, s42
	s_mul_i32 s35, s39, s42
	s_add_nc_u64 s[44:45], s[14:15], s[44:45]
	s_mul_hi_u32 s1, s39, s42
	s_mul_hi_u32 s37, s39, s43
	s_add_co_u32 s14, s44, s35
	s_add_co_ci_u32 s14, s45, s1
	s_mul_i32 s42, s39, s43
	s_add_co_ci_u32 s43, s37, 0
	s_delay_alu instid0(SALU_CYCLE_1) | instskip(NEXT) | instid1(SALU_CYCLE_1)
	s_add_nc_u64 s[42:43], s[14:15], s[42:43]
	s_add_co_u32 s38, s38, s42
	s_cselect_b32 s1, -1, 0
	s_delay_alu instid0(SALU_CYCLE_1) | instskip(SKIP_1) | instid1(SALU_CYCLE_1)
	s_cmp_lg_u32 s1, 0
	s_add_co_ci_u32 s39, s39, s43
	s_mul_u64 s[40:41], s[40:41], s[38:39]
	s_delay_alu instid0(SALU_CYCLE_1)
	s_mul_hi_u32 s43, s38, s41
	s_mul_i32 s42, s38, s41
	s_mul_hi_u32 s14, s38, s40
	s_mul_i32 s35, s39, s40
	s_add_nc_u64 s[42:43], s[14:15], s[42:43]
	s_mul_hi_u32 s1, s39, s40
	s_mul_hi_u32 s37, s39, s41
	s_add_co_u32 s14, s42, s35
	s_add_co_ci_u32 s14, s43, s1
	s_mul_i32 s40, s39, s41
	s_add_co_ci_u32 s41, s37, 0
	s_delay_alu instid0(SALU_CYCLE_1) | instskip(NEXT) | instid1(SALU_CYCLE_1)
	s_add_nc_u64 s[40:41], s[14:15], s[40:41]
	s_add_co_u32 s38, s38, s40
	s_cselect_b32 s1, -1, 0
	v_mul_hi_u32 v18, v10, s38
	s_cmp_lg_u32 s1, 0
	s_add_co_ci_u32 s14, s39, s41
	s_and_b64 s[40:41], s[38:39], s[24:25]
	v_mul_u64_e32 v[12:13], s[14:15], v[10:11]
	v_mul_u64_e32 v[8:9], s[40:41], v[14:15]
	;; [unrolled: 1-line block ×3, first 2 shown]
	s_delay_alu instid0(VALU_DEP_3) | instskip(NEXT) | instid1(VALU_DEP_1)
	v_add_nc_u64_e32 v[12:13], v[18:19], v[12:13]
	v_add_co_u32 v1, vcc_lo, v12, v8
	s_delay_alu instid0(VALU_DEP_2) | instskip(NEXT) | instid1(VALU_DEP_4)
	v_add_co_ci_u32_e32 v18, vcc_lo, v13, v9, vcc_lo
	v_add_co_ci_u32_e32 v17, vcc_lo, 0, v17, vcc_lo
	s_delay_alu instid0(VALU_DEP_1) | instskip(NEXT) | instid1(VALU_DEP_1)
	v_add_nc_u64_e32 v[8:9], v[18:19], v[16:17]
	v_mul_u64_e32 v[12:13], s[2:3], v[8:9]
	s_delay_alu instid0(VALU_DEP_1) | instskip(NEXT) | instid1(VALU_DEP_2)
	v_sub_nc_u32_e32 v1, v14, v13
	v_sub_co_u32 v5, vcc_lo, v10, v12
	s_delay_alu instid0(VALU_DEP_1) | instskip(NEXT) | instid1(VALU_DEP_3)
	v_sub_co_ci_u32_e64 v14, null, v14, v13, vcc_lo
	v_subrev_co_ci_u32_e64 v1, null, s3, v1, vcc_lo
	s_delay_alu instid0(VALU_DEP_3) | instskip(SKIP_1) | instid1(VALU_DEP_3)
	v_sub_co_u32 v7, s1, v5, s2
	v_add_nc_u64_e32 v[12:13], 1, v[8:9]
	v_subrev_co_ci_u32_e64 v1, null, 0, v1, s1
	s_delay_alu instid0(VALU_DEP_3) | instskip(SKIP_1) | instid1(VALU_DEP_3)
	v_cmp_le_u32_e32 vcc_lo, s2, v7
	v_cndmask_b32_e64 v7, 0, -1, vcc_lo
	v_cmp_le_u32_e32 vcc_lo, s3, v1
	v_cndmask_b32_e64 v10, 0, -1, vcc_lo
	;; [unrolled: 2-line block ×4, first 2 shown]
	v_cmp_eq_u32_e32 vcc_lo, s3, v1
	v_cndmask_b32_e32 v1, v10, v7, vcc_lo
	v_cmp_eq_u32_e32 vcc_lo, s3, v14
	v_add_nc_u64_e32 v[10:11], 2, v[8:9]
	v_cndmask_b32_e32 v5, v15, v5, vcc_lo
	s_delay_alu instid0(VALU_DEP_4) | instskip(NEXT) | instid1(VALU_DEP_2)
	v_cmp_ne_u32_e32 vcc_lo, 0, v1
	v_cmp_ne_u32_e64 s1, 0, v5
	s_delay_alu instid0(VALU_DEP_4) | instskip(NEXT) | instid1(VALU_DEP_1)
	v_dual_cndmask_b32 v1, v13, v11, vcc_lo :: v_dual_cndmask_b32 v5, v12, v10, vcc_lo
	v_dual_cndmask_b32 v1, v9, v1, s1 :: v_dual_bitop2_b32 v6, s34, v6 bitop3:0x14
	s_delay_alu instid0(VALU_DEP_1) | instskip(NEXT) | instid1(VALU_DEP_2)
	v_dual_cndmask_b32 v5, v8, v5, s1 :: v_dual_mov_b32 v7, v6
	v_xor_b32_e32 v9, v1, v6
	s_delay_alu instid0(VALU_DEP_2) | instskip(NEXT) | instid1(VALU_DEP_1)
	v_xor_b32_e32 v8, v5, v6
	v_sub_nc_u64_e32 v[6:7], v[8:9], v[6:7]
                                        ; implicit-def: $vgpr8_vgpr9
.LBB9_18:                               ;   in Loop: Header=BB9_12 Depth=1
	s_and_not1_saveexec_b32 s1, s36
	s_cbranch_execz .LBB9_20
; %bb.19:                               ;   in Loop: Header=BB9_12 Depth=1
	s_delay_alu instid0(VALU_DEP_3) | instskip(NEXT) | instid1(VALU_DEP_1)
	v_mul_hi_u32 v1, v8, v34
	v_mul_lo_u32 v5, v1, s16
	v_add_nc_u32_e32 v6, 1, v1
	s_delay_alu instid0(VALU_DEP_2) | instskip(NEXT) | instid1(VALU_DEP_1)
	v_sub_nc_u32_e32 v5, v8, v5
	v_cmp_le_u32_e32 vcc_lo, s16, v5
	s_delay_alu instid0(VALU_DEP_3) | instskip(SKIP_1) | instid1(VALU_DEP_1)
	v_cndmask_b32_e32 v1, v1, v6, vcc_lo
	v_subrev_nc_u32_e32 v7, s16, v5
	v_dual_cndmask_b32 v5, v5, v7 :: v_dual_add_nc_u32 v6, 1, v1
	s_delay_alu instid0(VALU_DEP_1) | instskip(NEXT) | instid1(VALU_DEP_2)
	v_cmp_le_u32_e32 vcc_lo, s16, v5
	v_cndmask_b32_e32 v6, v1, v6, vcc_lo
.LBB9_20:                               ;   in Loop: Header=BB9_12 Depth=1
	s_or_b32 exec_lo, exec_lo, s1
	v_add_nc_u64_e32 v[10:11], 1, v[2:3]
	s_mov_b32 s1, exec_lo
	s_delay_alu instid0(VALU_DEP_1) | instskip(NEXT) | instid1(VALU_DEP_1)
	v_mad_nc_u64_u32 v[8:9], v10, s20, -1
	v_mad_u32 v1, v11, s20, v9
	s_delay_alu instid0(VALU_DEP_1) | instskip(NEXT) | instid1(VALU_DEP_1)
	v_mad_u32 v9, v10, s21, v1
                                        ; implicit-def: $vgpr10_vgpr11
	v_or_b32_e32 v1, s17, v9
	s_delay_alu instid0(VALU_DEP_1)
	v_cmpx_ne_u64_e32 0, v[0:1]
	s_xor_b32 s36, exec_lo, s1
	s_cbranch_execnz .LBB9_23
; %bb.21:                               ;   in Loop: Header=BB9_12 Depth=1
	s_and_not1_saveexec_b32 s1, s36
	s_cbranch_execnz .LBB9_24
.LBB9_22:                               ;   in Loop: Header=BB9_12 Depth=1
	s_or_b32 exec_lo, exec_lo, s1
	s_and_saveexec_b32 s35, s0
	s_cbranch_execz .LBB9_11
	s_branch .LBB9_25
.LBB9_23:                               ;   in Loop: Header=BB9_12 Depth=1
	s_mov_b32 s35, s34
	v_dual_mov_b32 v13, v0 :: v_dual_ashrrev_i32 v10, 31, v9
	s_add_nc_u64 s[2:3], s[16:17], s[34:35]
	v_mov_b32_e32 v21, v0
	s_xor_b64 s[2:3], s[2:3], s[34:35]
	s_delay_alu instid0(VALU_DEP_2) | instskip(SKIP_3) | instid1(VALU_DEP_1)
	v_mov_b32_e32 v11, v10
	s_cvt_f32_u32 s1, s2
	s_cvt_f32_u32 s14, s3
	s_sub_nc_u64 s[40:41], 0, s[2:3]
	v_add_nc_u64_e32 v[8:9], v[8:9], v[10:11]
	s_delay_alu instid0(SALU_CYCLE_1) | instskip(SKIP_1) | instid1(SALU_CYCLE_2)
	s_fmamk_f32 s1, s14, 0x4f800000, s1
	v_mov_b32_e32 v17, v0
	v_s_rcp_f32 s1, s1
	s_delay_alu instid0(VALU_DEP_2) | instskip(NEXT) | instid1(VALU_DEP_3)
	v_xor_b32_e32 v12, v8, v10
	v_xor_b32_e32 v16, v9, v10
	s_delay_alu instid0(TRANS32_DEP_1) | instskip(NEXT) | instid1(SALU_CYCLE_3)
	s_mul_f32 s1, s1, 0x5f7ffffc
	s_mul_f32 s14, s1, 0x2f800000
	s_delay_alu instid0(SALU_CYCLE_3) | instskip(NEXT) | instid1(SALU_CYCLE_3)
	s_trunc_f32 s14, s14
	s_fmamk_f32 s1, s14, 0xcf800000, s1
	s_cvt_u32_f32 s39, s14
	s_delay_alu instid0(SALU_CYCLE_2) | instskip(NEXT) | instid1(SALU_CYCLE_3)
	s_cvt_u32_f32 s38, s1
	s_mul_u64 s[42:43], s[40:41], s[38:39]
	s_delay_alu instid0(SALU_CYCLE_1)
	s_mul_hi_u32 s45, s38, s43
	s_mul_i32 s44, s38, s43
	s_mul_hi_u32 s14, s38, s42
	s_mul_i32 s35, s39, s42
	s_add_nc_u64 s[44:45], s[14:15], s[44:45]
	s_mul_hi_u32 s1, s39, s42
	s_mul_hi_u32 s37, s39, s43
	s_add_co_u32 s14, s44, s35
	s_add_co_ci_u32 s14, s45, s1
	s_mul_i32 s42, s39, s43
	s_add_co_ci_u32 s43, s37, 0
	s_delay_alu instid0(SALU_CYCLE_1) | instskip(NEXT) | instid1(SALU_CYCLE_1)
	s_add_nc_u64 s[42:43], s[14:15], s[42:43]
	s_add_co_u32 s38, s38, s42
	s_cselect_b32 s1, -1, 0
	s_delay_alu instid0(SALU_CYCLE_1) | instskip(SKIP_1) | instid1(SALU_CYCLE_1)
	s_cmp_lg_u32 s1, 0
	s_add_co_ci_u32 s39, s39, s43
	s_mul_u64 s[40:41], s[40:41], s[38:39]
	s_delay_alu instid0(SALU_CYCLE_1)
	s_mul_hi_u32 s43, s38, s41
	s_mul_i32 s42, s38, s41
	s_mul_hi_u32 s14, s38, s40
	s_mul_i32 s35, s39, s40
	s_add_nc_u64 s[42:43], s[14:15], s[42:43]
	s_mul_hi_u32 s1, s39, s40
	s_mul_hi_u32 s37, s39, s41
	s_add_co_u32 s14, s42, s35
	s_add_co_ci_u32 s14, s43, s1
	s_mul_i32 s40, s39, s41
	s_add_co_ci_u32 s41, s37, 0
	s_delay_alu instid0(SALU_CYCLE_1) | instskip(NEXT) | instid1(SALU_CYCLE_1)
	s_add_nc_u64 s[40:41], s[14:15], s[40:41]
	s_add_co_u32 s38, s38, s40
	s_cselect_b32 s1, -1, 0
	v_mul_hi_u32 v20, v12, s38
	s_cmp_lg_u32 s1, 0
	s_add_co_ci_u32 s14, s39, s41
	s_and_b64 s[40:41], s[38:39], s[24:25]
	v_mul_u64_e32 v[14:15], s[14:15], v[12:13]
	v_mul_u64_e32 v[8:9], s[40:41], v[16:17]
	;; [unrolled: 1-line block ×3, first 2 shown]
	s_delay_alu instid0(VALU_DEP_3) | instskip(NEXT) | instid1(VALU_DEP_1)
	v_add_nc_u64_e32 v[14:15], v[20:21], v[14:15]
	v_add_co_u32 v1, vcc_lo, v14, v8
	s_delay_alu instid0(VALU_DEP_2) | instskip(NEXT) | instid1(VALU_DEP_4)
	v_add_co_ci_u32_e32 v20, vcc_lo, v15, v9, vcc_lo
	v_add_co_ci_u32_e32 v19, vcc_lo, 0, v19, vcc_lo
	s_delay_alu instid0(VALU_DEP_1) | instskip(NEXT) | instid1(VALU_DEP_1)
	v_add_nc_u64_e32 v[8:9], v[20:21], v[18:19]
	v_mul_u64_e32 v[14:15], s[2:3], v[8:9]
	s_delay_alu instid0(VALU_DEP_1) | instskip(SKIP_1) | instid1(VALU_DEP_3)
	v_sub_co_u32 v3, vcc_lo, v12, v14
	v_add_nc_u64_e32 v[12:13], 2, v[8:9]
	v_sub_nc_u32_e32 v1, v16, v15
	v_sub_co_ci_u32_e64 v7, null, v16, v15, vcc_lo
	s_delay_alu instid0(VALU_DEP_4) | instskip(NEXT) | instid1(VALU_DEP_3)
	v_sub_co_u32 v5, s1, v3, s2
	v_subrev_co_ci_u32_e64 v1, null, s3, v1, vcc_lo
	v_add_nc_u64_e32 v[14:15], 1, v[8:9]
	s_delay_alu instid0(VALU_DEP_3) | instskip(NEXT) | instid1(VALU_DEP_3)
	v_cmp_le_u32_e32 vcc_lo, s2, v5
	v_subrev_co_ci_u32_e64 v1, null, 0, v1, s1
	v_cndmask_b32_e64 v5, 0, -1, vcc_lo
	s_delay_alu instid0(VALU_DEP_2)
	v_cmp_le_u32_e32 vcc_lo, s3, v1
	v_cndmask_b32_e64 v11, 0, -1, vcc_lo
	v_cmp_le_u32_e32 vcc_lo, s2, v3
	v_cndmask_b32_e64 v3, 0, -1, vcc_lo
	;; [unrolled: 2-line block ×3, first 2 shown]
	v_cmp_eq_u32_e32 vcc_lo, s3, v1
	v_cndmask_b32_e32 v1, v11, v5, vcc_lo
	v_cmp_eq_u32_e32 vcc_lo, s3, v7
	s_delay_alu instid0(VALU_DEP_4) | instskip(NEXT) | instid1(VALU_DEP_3)
	v_cndmask_b32_e32 v3, v16, v3, vcc_lo
	v_cmp_ne_u32_e32 vcc_lo, 0, v1
	v_cndmask_b32_e32 v1, v15, v13, vcc_lo
	s_delay_alu instid0(VALU_DEP_3) | instskip(SKIP_1) | instid1(VALU_DEP_1)
	v_cmp_ne_u32_e64 s1, 0, v3
	v_dual_cndmask_b32 v3, v14, v12, vcc_lo :: v_dual_bitop2_b32 v10, s34, v10 bitop3:0x14
	v_dual_cndmask_b32 v1, v9, v1, s1 :: v_dual_cndmask_b32 v3, v8, v3, s1
	s_delay_alu instid0(VALU_DEP_1) | instskip(NEXT) | instid1(VALU_DEP_2)
	v_dual_mov_b32 v11, v10 :: v_dual_bitop2_b32 v9, v1, v10 bitop3:0x14
	v_xor_b32_e32 v8, v3, v10
	s_delay_alu instid0(VALU_DEP_1)
	v_sub_nc_u64_e32 v[10:11], v[8:9], v[10:11]
                                        ; implicit-def: $vgpr8_vgpr9
	s_and_not1_saveexec_b32 s1, s36
	s_cbranch_execz .LBB9_22
.LBB9_24:                               ;   in Loop: Header=BB9_12 Depth=1
	v_mul_hi_u32 v1, v8, v34
	s_delay_alu instid0(VALU_DEP_1) | instskip(NEXT) | instid1(VALU_DEP_1)
	v_mul_lo_u32 v3, v1, s16
	v_dual_add_nc_u32 v5, 1, v1 :: v_dual_sub_nc_u32 v3, v8, v3
	s_delay_alu instid0(VALU_DEP_1) | instskip(SKIP_1) | instid1(VALU_DEP_2)
	v_subrev_nc_u32_e32 v7, s16, v3
	v_cmp_le_u32_e32 vcc_lo, s16, v3
	v_dual_cndmask_b32 v3, v3, v7, vcc_lo :: v_dual_cndmask_b32 v1, v1, v5, vcc_lo
	s_delay_alu instid0(VALU_DEP_1) | instskip(NEXT) | instid1(VALU_DEP_2)
	v_cmp_le_u32_e32 vcc_lo, s16, v3
	v_add_nc_u32_e32 v5, 1, v1
	s_delay_alu instid0(VALU_DEP_1)
	v_cndmask_b32_e32 v10, v1, v5, vcc_lo
	s_or_b32 exec_lo, exec_lo, s1
	s_and_saveexec_b32 s35, s0
	s_cbranch_execz .LBB9_11
.LBB9_25:                               ;   in Loop: Header=BB9_12 Depth=1
	v_mul_lo_u32 v8, v2, s6
	v_mad_u32 v3, v4, s20, v6
	v_mad_u32 v36, s8, v4, v6
	v_dual_mov_b32 v6, v32 :: v_dual_add_nc_u32 v35, 1, v10
	s_mov_b32 s55, 0
	s_delay_alu instid0(VALU_DEP_4) | instskip(NEXT) | instid1(VALU_DEP_2)
	v_ashrrev_i32_e32 v9, 31, v8
	v_cmp_gt_i32_e64 s1, v35, v3
	s_delay_alu instid0(VALU_DEP_2)
	v_lshl_add_u64 v[4:5], v[8:9], 2, s[26:27]
	s_branch .LBB9_27
.LBB9_26:                               ;   in Loop: Header=BB9_27 Depth=2
	v_add_nc_u32_e32 v6, s7, v6
	s_delay_alu instid0(VALU_DEP_1) | instskip(SKIP_1) | instid1(SALU_CYCLE_1)
	v_cmp_le_i32_e32 vcc_lo, s6, v6
	s_or_b32 s55, vcc_lo, s55
	s_and_not1_b32 exec_lo, exec_lo, s55
	s_cbranch_execz .LBB9_11
.LBB9_27:                               ;   Parent Loop BB9_12 Depth=1
                                        ; =>  This Loop Header: Depth=2
                                        ;       Child Loop BB9_42 Depth 3
                                        ;         Child Loop BB9_54 Depth 4
                                        ;           Child Loop BB9_69 Depth 5
	s_mov_b32 s2, s15
	s_mov_b32 s3, s19
	v_mov_b32_e32 v7, v0
	s_cmp_lg_u64 s[2:3], 0
                                        ; implicit-def: $vgpr12_vgpr13
	s_cselect_b32 s2, -1, 0
	s_delay_alu instid0(SALU_CYCLE_1) | instskip(NEXT) | instid1(SALU_CYCLE_1)
	s_and_saveexec_b32 s3, s2
	s_xor_b32 s3, exec_lo, s3
	s_cbranch_execz .LBB9_29
; %bb.28:                               ;   in Loop: Header=BB9_27 Depth=2
	s_ashr_i32 s36, s19, 31
	v_add_nc_u64_e32 v[8:9], 0, v[6:7]
	s_mov_b32 s37, s36
	v_mov_b32_e32 v11, v0
	s_add_nc_u64 s[38:39], s[18:19], s[36:37]
	v_mov_b32_e32 v13, v0
	s_xor_b64 s[38:39], s[38:39], s[36:37]
	v_mov_b32_e32 v17, v0
	s_cvt_f32_u32 s2, s38
	s_cvt_f32_u32 s14, s39
	s_sub_nc_u64 s[42:43], 0, s[38:39]
	v_dual_mov_b32 v10, v8 :: v_dual_mov_b32 v12, v9
	s_delay_alu instid0(SALU_CYCLE_1) | instskip(NEXT) | instid1(SALU_CYCLE_3)
	s_fmamk_f32 s2, s14, 0x4f800000, s2
	v_s_rcp_f32 s2, s2
	s_delay_alu instid0(TRANS32_DEP_1) | instskip(NEXT) | instid1(SALU_CYCLE_3)
	s_mul_f32 s2, s2, 0x5f7ffffc
	s_mul_f32 s14, s2, 0x2f800000
	s_delay_alu instid0(SALU_CYCLE_3) | instskip(NEXT) | instid1(SALU_CYCLE_3)
	s_trunc_f32 s14, s14
	s_fmamk_f32 s2, s14, 0xcf800000, s2
	s_cvt_u32_f32 s41, s14
	s_delay_alu instid0(SALU_CYCLE_2) | instskip(NEXT) | instid1(SALU_CYCLE_3)
	s_cvt_u32_f32 s40, s2
	s_mul_u64 s[44:45], s[42:43], s[40:41]
	s_delay_alu instid0(SALU_CYCLE_1)
	s_mul_hi_u32 s47, s40, s45
	s_mul_i32 s46, s40, s45
	s_mul_hi_u32 s14, s40, s44
	s_mul_i32 s37, s41, s44
	s_add_nc_u64 s[46:47], s[14:15], s[46:47]
	s_mul_hi_u32 s2, s41, s44
	s_mul_hi_u32 s48, s41, s45
	s_add_co_u32 s14, s46, s37
	s_add_co_ci_u32 s14, s47, s2
	s_mul_i32 s44, s41, s45
	s_add_co_ci_u32 s45, s48, 0
	s_delay_alu instid0(SALU_CYCLE_1) | instskip(NEXT) | instid1(SALU_CYCLE_1)
	s_add_nc_u64 s[44:45], s[14:15], s[44:45]
	s_add_co_u32 s40, s40, s44
	s_cselect_b32 s2, -1, 0
	s_delay_alu instid0(SALU_CYCLE_1) | instskip(SKIP_1) | instid1(SALU_CYCLE_1)
	s_cmp_lg_u32 s2, 0
	s_add_co_ci_u32 s41, s41, s45
	s_mul_u64 s[42:43], s[42:43], s[40:41]
	s_delay_alu instid0(SALU_CYCLE_1)
	s_mul_hi_u32 s45, s40, s43
	s_mul_i32 s44, s40, s43
	s_mul_hi_u32 s14, s40, s42
	s_mul_i32 s37, s41, s42
	s_add_nc_u64 s[44:45], s[14:15], s[44:45]
	s_mul_hi_u32 s2, s41, s42
	s_mul_hi_u32 s46, s41, s43
	s_add_co_u32 s14, s44, s37
	s_add_co_ci_u32 s14, s45, s2
	s_mul_i32 s42, s41, s43
	s_add_co_ci_u32 s43, s46, 0
	s_delay_alu instid0(SALU_CYCLE_1) | instskip(NEXT) | instid1(SALU_CYCLE_1)
	s_add_nc_u64 s[42:43], s[14:15], s[42:43]
	s_add_co_u32 s2, s40, s42
	s_cselect_b32 s14, -1, 0
	v_nop
	v_mul_hi_u32 v16, v8, s2
	s_cmp_lg_u32 s14, 0
	s_add_co_ci_u32 s14, s41, s43
	s_and_b64 s[40:41], s[2:3], s[24:25]
	v_mul_u64_e32 v[10:11], s[14:15], v[10:11]
	v_mul_u64_e32 v[14:15], s[40:41], v[12:13]
	;; [unrolled: 1-line block ×3, first 2 shown]
	s_delay_alu instid0(VALU_DEP_3) | instskip(NEXT) | instid1(VALU_DEP_1)
	v_add_nc_u64_e32 v[10:11], v[16:17], v[10:11]
	v_add_co_u32 v1, vcc_lo, v10, v14
	s_delay_alu instid0(VALU_DEP_2) | instskip(NEXT) | instid1(VALU_DEP_4)
	v_add_co_ci_u32_e32 v16, vcc_lo, v11, v15, vcc_lo
	v_add_co_ci_u32_e32 v13, vcc_lo, 0, v13, vcc_lo
	s_delay_alu instid0(VALU_DEP_1) | instskip(NEXT) | instid1(VALU_DEP_1)
	v_add_nc_u64_e32 v[10:11], v[16:17], v[12:13]
	v_mul_u64_e32 v[12:13], s[38:39], v[10:11]
	v_add_nc_u64_e32 v[14:15], 2, v[10:11]
	s_delay_alu instid0(VALU_DEP_2) | instskip(NEXT) | instid1(VALU_DEP_3)
	v_sub_nc_u32_e32 v1, v9, v13
	v_sub_co_u32 v8, vcc_lo, v8, v12
	s_delay_alu instid0(VALU_DEP_1) | instskip(NEXT) | instid1(VALU_DEP_3)
	v_sub_co_ci_u32_e64 v13, null, v9, v13, vcc_lo
	v_subrev_co_ci_u32_e64 v1, null, s39, v1, vcc_lo
	s_delay_alu instid0(VALU_DEP_3) | instskip(SKIP_1) | instid1(VALU_DEP_3)
	v_sub_co_u32 v12, s2, v8, s38
	v_cmp_le_u32_e32 vcc_lo, s38, v8
	v_subrev_co_ci_u32_e64 v1, null, 0, v1, s2
	s_delay_alu instid0(VALU_DEP_3) | instskip(SKIP_2) | instid1(VALU_DEP_4)
	v_cmp_le_u32_e64 s2, s38, v12
	v_add_nc_u64_e32 v[8:9], 1, v[10:11]
	v_cndmask_b32_e64 v17, 0, -1, vcc_lo
	v_cmp_eq_u32_e32 vcc_lo, s39, v1
	s_delay_alu instid0(VALU_DEP_4) | instskip(SKIP_1) | instid1(VALU_DEP_1)
	v_cndmask_b32_e64 v12, 0, -1, s2
	v_cmp_le_u32_e64 s2, s39, v1
	v_cndmask_b32_e64 v16, 0, -1, s2
	v_cmp_eq_u32_e64 s2, s39, v13
	s_delay_alu instid0(VALU_DEP_2) | instskip(SKIP_2) | instid1(VALU_DEP_3)
	v_cndmask_b32_e32 v1, v16, v12, vcc_lo
	v_cmp_le_u32_e32 vcc_lo, s39, v13
	v_cndmask_b32_e64 v12, 0, -1, vcc_lo
	v_cmp_ne_u32_e32 vcc_lo, 0, v1
	v_dual_cndmask_b32 v9, v9, v15 :: v_dual_cndmask_b32 v8, v8, v14
	s_delay_alu instid0(VALU_DEP_3) | instskip(NEXT) | instid1(VALU_DEP_1)
	v_cndmask_b32_e64 v1, v12, v17, s2
	v_cmp_ne_u32_e32 vcc_lo, 0, v1
	s_delay_alu instid0(VALU_DEP_3) | instskip(SKIP_1) | instid1(VALU_DEP_2)
	v_dual_cndmask_b32 v1, v11, v9 :: v_dual_cndmask_b32 v10, v10, v8
	v_dual_mov_b32 v9, s36 :: v_dual_mov_b32 v8, s36
	v_xor_b32_e32 v11, s36, v1
	s_delay_alu instid0(VALU_DEP_3) | instskip(NEXT) | instid1(VALU_DEP_1)
	v_xor_b32_e32 v10, s36, v10
	v_sub_nc_u64_e32 v[12:13], v[10:11], v[8:9]
.LBB9_29:                               ;   in Loop: Header=BB9_27 Depth=2
	s_or_saveexec_b32 s2, s3
	v_cvt_f32_u32_e32 v10, s18
	s_xor_b32 exec_lo, exec_lo, s2
	s_cbranch_execz .LBB9_31
; %bb.30:                               ;   in Loop: Header=BB9_27 Depth=2
	s_delay_alu instid0(VALU_DEP_1) | instskip(SKIP_2) | instid1(TRANS32_DEP_1)
	v_rcp_iflag_f32_e32 v1, v10
	s_sub_co_i32 s3, 0, s18
	v_mov_b32_e32 v13, v0
	v_mul_f32_e32 v1, 0x4f7ffffe, v1
	s_delay_alu instid0(VALU_DEP_1) | instskip(NEXT) | instid1(VALU_DEP_1)
	v_cvt_u32_f32_e32 v1, v1
	v_mul_lo_u32 v8, s3, v1
	s_delay_alu instid0(VALU_DEP_1) | instskip(NEXT) | instid1(VALU_DEP_1)
	v_mul_hi_u32 v8, v1, v8
	v_add_nc_u32_e32 v1, v1, v8
	s_delay_alu instid0(VALU_DEP_1) | instskip(NEXT) | instid1(VALU_DEP_1)
	v_mul_hi_u32 v1, v6, v1
	v_mul_lo_u32 v8, v1, s18
	s_delay_alu instid0(VALU_DEP_1) | instskip(NEXT) | instid1(VALU_DEP_1)
	v_dual_add_nc_u32 v9, 1, v1 :: v_dual_sub_nc_u32 v8, v6, v8
	v_subrev_nc_u32_e32 v11, s18, v8
	v_cmp_le_u32_e32 vcc_lo, s18, v8
	s_delay_alu instid0(VALU_DEP_2) | instskip(NEXT) | instid1(VALU_DEP_1)
	v_dual_cndmask_b32 v8, v8, v11 :: v_dual_cndmask_b32 v1, v1, v9
	v_cmp_le_u32_e32 vcc_lo, s18, v8
	s_delay_alu instid0(VALU_DEP_2) | instskip(NEXT) | instid1(VALU_DEP_1)
	v_add_nc_u32_e32 v9, 1, v1
	v_cndmask_b32_e32 v12, v1, v9, vcc_lo
.LBB9_31:                               ;   in Loop: Header=BB9_27 Depth=2
	s_or_b32 exec_lo, exec_lo, s2
	s_delay_alu instid0(VALU_DEP_1) | instskip(SKIP_1) | instid1(VALU_DEP_1)
	v_mul_u64_e32 v[8:9], s[18:19], v[12:13]
                                        ; implicit-def: $vgpr14_vgpr15
	s_mov_b32 s2, exec_lo
	v_sub_nc_u64_e32 v[8:9], v[6:7], v[8:9]
	s_delay_alu instid0(VALU_DEP_1) | instskip(NEXT) | instid1(VALU_DEP_1)
	v_mul_u64_e32 v[8:9], s[22:23], v[8:9]
	v_or_b32_e32 v1, s19, v9
	s_delay_alu instid0(VALU_DEP_1)
	v_cmpx_ne_u64_e32 0, v[0:1]
	s_xor_b32 s3, exec_lo, s2
	s_cbranch_execz .LBB9_33
; %bb.32:                               ;   in Loop: Header=BB9_27 Depth=2
	s_ashr_i32 s36, s19, 31
	v_dual_mov_b32 v17, v0 :: v_dual_ashrrev_i32 v14, 31, v9
	s_mov_b32 s37, s36
	v_mov_b32_e32 v25, v0
	s_add_nc_u64 s[38:39], s[18:19], s[36:37]
	s_delay_alu instid0(VALU_DEP_2) | instskip(SKIP_1) | instid1(SALU_CYCLE_1)
	v_mov_b32_e32 v15, v14
	s_xor_b64 s[38:39], s[38:39], s[36:37]
	s_cvt_f32_u32 s2, s38
	s_cvt_f32_u32 s14, s39
	s_sub_nc_u64 s[42:43], 0, s[38:39]
	v_add_nc_u64_e32 v[8:9], v[8:9], v[14:15]
	v_mov_b32_e32 v21, v0
	s_fmamk_f32 s2, s14, 0x4f800000, s2
	s_delay_alu instid0(SALU_CYCLE_3) | instskip(NEXT) | instid1(VALU_DEP_2)
	v_s_rcp_f32 s2, s2
	v_xor_b32_e32 v16, v8, v14
	s_delay_alu instid0(VALU_DEP_3) | instskip(SKIP_1) | instid1(TRANS32_DEP_1)
	v_xor_b32_e32 v20, v9, v14
	v_xor_b32_e32 v14, s36, v14
	s_mul_f32 s2, s2, 0x5f7ffffc
	s_delay_alu instid0(SALU_CYCLE_3) | instskip(NEXT) | instid1(SALU_CYCLE_3)
	s_mul_f32 s14, s2, 0x2f800000
	s_trunc_f32 s14, s14
	s_delay_alu instid0(SALU_CYCLE_3) | instskip(SKIP_1) | instid1(SALU_CYCLE_2)
	s_fmamk_f32 s2, s14, 0xcf800000, s2
	s_cvt_u32_f32 s41, s14
	s_cvt_u32_f32 s40, s2
	s_delay_alu instid0(SALU_CYCLE_3) | instskip(NEXT) | instid1(SALU_CYCLE_1)
	s_mul_u64 s[44:45], s[42:43], s[40:41]
	s_mul_hi_u32 s47, s40, s45
	s_mul_i32 s46, s40, s45
	s_mul_hi_u32 s14, s40, s44
	s_mul_i32 s37, s41, s44
	s_add_nc_u64 s[46:47], s[14:15], s[46:47]
	s_mul_hi_u32 s2, s41, s44
	s_mul_hi_u32 s48, s41, s45
	s_add_co_u32 s14, s46, s37
	s_add_co_ci_u32 s14, s47, s2
	s_mul_i32 s44, s41, s45
	s_add_co_ci_u32 s45, s48, 0
	s_delay_alu instid0(SALU_CYCLE_1) | instskip(NEXT) | instid1(SALU_CYCLE_1)
	s_add_nc_u64 s[44:45], s[14:15], s[44:45]
	s_add_co_u32 s40, s40, s44
	s_cselect_b32 s2, -1, 0
	s_delay_alu instid0(SALU_CYCLE_1) | instskip(SKIP_1) | instid1(SALU_CYCLE_1)
	s_cmp_lg_u32 s2, 0
	s_add_co_ci_u32 s41, s41, s45
	s_mul_u64 s[42:43], s[42:43], s[40:41]
	s_delay_alu instid0(SALU_CYCLE_1)
	s_mul_hi_u32 s45, s40, s43
	s_mul_i32 s44, s40, s43
	s_mul_hi_u32 s14, s40, s42
	s_mul_i32 s37, s41, s42
	s_add_nc_u64 s[44:45], s[14:15], s[44:45]
	s_mul_hi_u32 s2, s41, s42
	s_mul_hi_u32 s46, s41, s43
	s_add_co_u32 s14, s44, s37
	s_add_co_ci_u32 s14, s45, s2
	s_mul_i32 s42, s41, s43
	s_add_co_ci_u32 s43, s46, 0
	s_delay_alu instid0(SALU_CYCLE_1) | instskip(NEXT) | instid1(SALU_CYCLE_1)
	s_add_nc_u64 s[42:43], s[14:15], s[42:43]
	s_add_co_u32 s2, s40, s42
	s_cselect_b32 s14, -1, 0
	v_mul_hi_u32 v24, v16, s2
	s_cmp_lg_u32 s14, 0
	s_add_co_ci_u32 s14, s41, s43
	s_and_b64 s[40:41], s[2:3], s[24:25]
	v_mul_u64_e32 v[18:19], s[14:15], v[16:17]
	v_mul_u64_e32 v[8:9], s[40:41], v[20:21]
	;; [unrolled: 1-line block ×3, first 2 shown]
	s_delay_alu instid0(VALU_DEP_3) | instskip(NEXT) | instid1(VALU_DEP_1)
	v_add_nc_u64_e32 v[18:19], v[24:25], v[18:19]
	v_add_co_u32 v1, vcc_lo, v18, v8
	s_delay_alu instid0(VALU_DEP_2) | instskip(NEXT) | instid1(VALU_DEP_4)
	v_add_co_ci_u32_e32 v24, vcc_lo, v19, v9, vcc_lo
	v_add_co_ci_u32_e32 v23, vcc_lo, 0, v23, vcc_lo
	s_delay_alu instid0(VALU_DEP_1) | instskip(NEXT) | instid1(VALU_DEP_1)
	v_add_nc_u64_e32 v[8:9], v[24:25], v[22:23]
	v_mul_u64_e32 v[18:19], s[38:39], v[8:9]
	s_delay_alu instid0(VALU_DEP_1) | instskip(NEXT) | instid1(VALU_DEP_2)
	v_sub_nc_u32_e32 v1, v20, v19
	v_sub_co_u32 v11, vcc_lo, v16, v18
	s_delay_alu instid0(VALU_DEP_1) | instskip(NEXT) | instid1(VALU_DEP_3)
	v_sub_co_ci_u32_e64 v15, null, v20, v19, vcc_lo
	v_subrev_co_ci_u32_e64 v1, null, s39, v1, vcc_lo
	s_delay_alu instid0(VALU_DEP_3) | instskip(SKIP_1) | instid1(VALU_DEP_3)
	v_sub_co_u32 v13, s2, v11, s38
	v_add_nc_u64_e32 v[18:19], 1, v[8:9]
	v_subrev_co_ci_u32_e64 v1, null, 0, v1, s2
	s_delay_alu instid0(VALU_DEP_3) | instskip(SKIP_1) | instid1(VALU_DEP_3)
	v_cmp_le_u32_e32 vcc_lo, s38, v13
	v_cndmask_b32_e64 v13, 0, -1, vcc_lo
	v_cmp_le_u32_e32 vcc_lo, s39, v1
	v_cndmask_b32_e64 v16, 0, -1, vcc_lo
	;; [unrolled: 2-line block ×4, first 2 shown]
	v_cmp_eq_u32_e32 vcc_lo, s39, v1
	v_cndmask_b32_e32 v1, v16, v13, vcc_lo
	v_cmp_eq_u32_e32 vcc_lo, s39, v15
	v_add_nc_u64_e32 v[16:17], 2, v[8:9]
	v_dual_mov_b32 v15, v14 :: v_dual_cndmask_b32 v11, v20, v11, vcc_lo
	s_delay_alu instid0(VALU_DEP_4) | instskip(NEXT) | instid1(VALU_DEP_2)
	v_cmp_ne_u32_e32 vcc_lo, 0, v1
	v_cmp_ne_u32_e64 s2, 0, v11
	s_delay_alu instid0(VALU_DEP_4) | instskip(NEXT) | instid1(VALU_DEP_1)
	v_dual_cndmask_b32 v1, v19, v17, vcc_lo :: v_dual_cndmask_b32 v11, v18, v16, vcc_lo
	v_dual_cndmask_b32 v1, v9, v1, s2 :: v_dual_cndmask_b32 v8, v8, v11, s2
	s_delay_alu instid0(VALU_DEP_1) | instskip(NEXT) | instid1(VALU_DEP_2)
	v_xor_b32_e32 v9, v1, v14
	v_xor_b32_e32 v8, v8, v14
	s_delay_alu instid0(VALU_DEP_1)
	v_sub_nc_u64_e32 v[14:15], v[8:9], v[14:15]
                                        ; implicit-def: $vgpr8_vgpr9
.LBB9_33:                               ;   in Loop: Header=BB9_27 Depth=2
	s_and_not1_saveexec_b32 s2, s3
	s_cbranch_execz .LBB9_35
; %bb.34:                               ;   in Loop: Header=BB9_27 Depth=2
	v_rcp_iflag_f32_e32 v1, v10
	s_sub_co_i32 s3, 0, s18
	v_nop
	s_delay_alu instid0(TRANS32_DEP_1) | instskip(NEXT) | instid1(VALU_DEP_1)
	v_mul_f32_e32 v1, 0x4f7ffffe, v1
	v_cvt_u32_f32_e32 v1, v1
	s_delay_alu instid0(VALU_DEP_1) | instskip(NEXT) | instid1(VALU_DEP_1)
	v_mul_lo_u32 v9, s3, v1
	v_mul_hi_u32 v9, v1, v9
	s_delay_alu instid0(VALU_DEP_1) | instskip(NEXT) | instid1(VALU_DEP_1)
	v_add_nc_u32_e32 v1, v1, v9
	v_mul_hi_u32 v1, v8, v1
	s_delay_alu instid0(VALU_DEP_1) | instskip(NEXT) | instid1(VALU_DEP_1)
	v_mul_lo_u32 v9, v1, s18
	v_sub_nc_u32_e32 v8, v8, v9
	v_add_nc_u32_e32 v9, 1, v1
	s_delay_alu instid0(VALU_DEP_2) | instskip(SKIP_1) | instid1(VALU_DEP_2)
	v_subrev_nc_u32_e32 v11, s18, v8
	v_cmp_le_u32_e32 vcc_lo, s18, v8
	v_dual_cndmask_b32 v8, v8, v11 :: v_dual_cndmask_b32 v1, v1, v9
	s_delay_alu instid0(VALU_DEP_1) | instskip(NEXT) | instid1(VALU_DEP_2)
	v_cmp_le_u32_e32 vcc_lo, s18, v8
	v_add_nc_u32_e32 v9, 1, v1
	s_delay_alu instid0(VALU_DEP_1)
	v_cndmask_b32_e32 v14, v1, v9, vcc_lo
.LBB9_35:                               ;   in Loop: Header=BB9_27 Depth=2
	s_or_b32 exec_lo, exec_lo, s2
	v_add_nc_u32_e32 v1, 1, v6
                                        ; implicit-def: $vgpr16_vgpr17
	s_mov_b32 s2, exec_lo
	s_delay_alu instid0(VALU_DEP_1) | instskip(NEXT) | instid1(VALU_DEP_1)
	v_mad_nc_u64_u32 v[8:9], v1, s22, -1
	v_mad_u32 v9, v1, s23, v9
	s_delay_alu instid0(VALU_DEP_1) | instskip(NEXT) | instid1(VALU_DEP_1)
	v_or_b32_e32 v1, s19, v9
	v_cmpx_ne_u64_e32 0, v[0:1]
	s_xor_b32 s3, exec_lo, s2
	s_cbranch_execnz .LBB9_38
; %bb.36:                               ;   in Loop: Header=BB9_27 Depth=2
	s_and_not1_saveexec_b32 s2, s3
	s_cbranch_execnz .LBB9_39
.LBB9_37:                               ;   in Loop: Header=BB9_27 Depth=2
	s_or_b32 exec_lo, exec_lo, s2
	s_delay_alu instid0(SALU_CYCLE_1)
	s_and_not1_b32 vcc_lo, exec_lo, s50
	s_cbranch_vccnz .LBB9_26
	s_branch .LBB9_40
.LBB9_38:                               ;   in Loop: Header=BB9_27 Depth=2
	s_ashr_i32 s36, s19, 31
	v_dual_mov_b32 v17, v0 :: v_dual_ashrrev_i32 v10, 31, v9
	s_mov_b32 s37, s36
	v_mov_b32_e32 v25, v0
	s_add_nc_u64 s[38:39], s[18:19], s[36:37]
	s_delay_alu instid0(VALU_DEP_2) | instskip(SKIP_1) | instid1(SALU_CYCLE_1)
	v_mov_b32_e32 v11, v10
	s_xor_b64 s[38:39], s[38:39], s[36:37]
	s_cvt_f32_u32 s2, s38
	s_cvt_f32_u32 s14, s39
	s_sub_nc_u64 s[42:43], 0, s[38:39]
	v_add_nc_u64_e32 v[8:9], v[8:9], v[10:11]
	v_mov_b32_e32 v21, v0
	s_fmamk_f32 s2, s14, 0x4f800000, s2
	s_delay_alu instid0(SALU_CYCLE_3) | instskip(NEXT) | instid1(VALU_DEP_2)
	v_s_rcp_f32 s2, s2
	v_xor_b32_e32 v16, v8, v10
	s_delay_alu instid0(VALU_DEP_3) | instskip(SKIP_1) | instid1(TRANS32_DEP_1)
	v_xor_b32_e32 v20, v9, v10
	v_xor_b32_e32 v10, s36, v10
	s_mul_f32 s2, s2, 0x5f7ffffc
	s_delay_alu instid0(SALU_CYCLE_3) | instskip(NEXT) | instid1(SALU_CYCLE_3)
	s_mul_f32 s14, s2, 0x2f800000
	s_trunc_f32 s14, s14
	s_delay_alu instid0(SALU_CYCLE_3) | instskip(SKIP_1) | instid1(SALU_CYCLE_2)
	s_fmamk_f32 s2, s14, 0xcf800000, s2
	s_cvt_u32_f32 s41, s14
	s_cvt_u32_f32 s40, s2
	s_delay_alu instid0(SALU_CYCLE_3) | instskip(NEXT) | instid1(SALU_CYCLE_1)
	s_mul_u64 s[44:45], s[42:43], s[40:41]
	s_mul_hi_u32 s47, s40, s45
	s_mul_i32 s46, s40, s45
	s_mul_hi_u32 s14, s40, s44
	s_mul_i32 s37, s41, s44
	s_add_nc_u64 s[46:47], s[14:15], s[46:47]
	s_mul_hi_u32 s2, s41, s44
	s_mul_hi_u32 s48, s41, s45
	s_add_co_u32 s14, s46, s37
	s_add_co_ci_u32 s14, s47, s2
	s_mul_i32 s44, s41, s45
	s_add_co_ci_u32 s45, s48, 0
	s_delay_alu instid0(SALU_CYCLE_1) | instskip(NEXT) | instid1(SALU_CYCLE_1)
	s_add_nc_u64 s[44:45], s[14:15], s[44:45]
	s_add_co_u32 s40, s40, s44
	s_cselect_b32 s2, -1, 0
	s_delay_alu instid0(SALU_CYCLE_1) | instskip(SKIP_1) | instid1(SALU_CYCLE_1)
	s_cmp_lg_u32 s2, 0
	s_add_co_ci_u32 s41, s41, s45
	s_mul_u64 s[42:43], s[42:43], s[40:41]
	s_delay_alu instid0(SALU_CYCLE_1)
	s_mul_hi_u32 s45, s40, s43
	s_mul_i32 s44, s40, s43
	s_mul_hi_u32 s14, s40, s42
	s_mul_i32 s37, s41, s42
	s_add_nc_u64 s[44:45], s[14:15], s[44:45]
	s_mul_hi_u32 s2, s41, s42
	s_mul_hi_u32 s46, s41, s43
	s_add_co_u32 s14, s44, s37
	s_add_co_ci_u32 s14, s45, s2
	s_mul_i32 s42, s41, s43
	s_add_co_ci_u32 s43, s46, 0
	s_delay_alu instid0(SALU_CYCLE_1) | instskip(NEXT) | instid1(SALU_CYCLE_1)
	s_add_nc_u64 s[42:43], s[14:15], s[42:43]
	s_add_co_u32 s2, s40, s42
	s_cselect_b32 s14, -1, 0
	v_mul_hi_u32 v24, v16, s2
	s_cmp_lg_u32 s14, 0
	s_add_co_ci_u32 s14, s41, s43
	s_and_b64 s[40:41], s[2:3], s[24:25]
	v_mul_u64_e32 v[18:19], s[14:15], v[16:17]
	v_mul_u64_e32 v[8:9], s[40:41], v[20:21]
	;; [unrolled: 1-line block ×3, first 2 shown]
	s_delay_alu instid0(VALU_DEP_3) | instskip(NEXT) | instid1(VALU_DEP_1)
	v_add_nc_u64_e32 v[18:19], v[24:25], v[18:19]
	v_add_co_u32 v1, vcc_lo, v18, v8
	s_delay_alu instid0(VALU_DEP_2) | instskip(NEXT) | instid1(VALU_DEP_4)
	v_add_co_ci_u32_e32 v24, vcc_lo, v19, v9, vcc_lo
	v_add_co_ci_u32_e32 v23, vcc_lo, 0, v23, vcc_lo
	s_delay_alu instid0(VALU_DEP_1) | instskip(NEXT) | instid1(VALU_DEP_1)
	v_add_nc_u64_e32 v[8:9], v[24:25], v[22:23]
	v_mul_u64_e32 v[18:19], s[38:39], v[8:9]
	s_delay_alu instid0(VALU_DEP_1) | instskip(NEXT) | instid1(VALU_DEP_2)
	v_sub_nc_u32_e32 v1, v20, v19
	v_sub_co_u32 v11, vcc_lo, v16, v18
	s_delay_alu instid0(VALU_DEP_1) | instskip(NEXT) | instid1(VALU_DEP_3)
	v_sub_co_ci_u32_e64 v15, null, v20, v19, vcc_lo
	v_subrev_co_ci_u32_e64 v1, null, s39, v1, vcc_lo
	s_delay_alu instid0(VALU_DEP_3) | instskip(SKIP_1) | instid1(VALU_DEP_3)
	v_sub_co_u32 v13, s2, v11, s38
	v_add_nc_u64_e32 v[18:19], 1, v[8:9]
	v_subrev_co_ci_u32_e64 v1, null, 0, v1, s2
	s_delay_alu instid0(VALU_DEP_3) | instskip(SKIP_1) | instid1(VALU_DEP_3)
	v_cmp_le_u32_e32 vcc_lo, s38, v13
	v_cndmask_b32_e64 v13, 0, -1, vcc_lo
	v_cmp_le_u32_e32 vcc_lo, s39, v1
	v_cndmask_b32_e64 v16, 0, -1, vcc_lo
	;; [unrolled: 2-line block ×4, first 2 shown]
	v_cmp_eq_u32_e32 vcc_lo, s39, v1
	v_cndmask_b32_e32 v1, v16, v13, vcc_lo
	v_cmp_eq_u32_e32 vcc_lo, s39, v15
	v_add_nc_u64_e32 v[16:17], 2, v[8:9]
	v_cndmask_b32_e32 v11, v20, v11, vcc_lo
	s_delay_alu instid0(VALU_DEP_4) | instskip(NEXT) | instid1(VALU_DEP_2)
	v_cmp_ne_u32_e32 vcc_lo, 0, v1
	v_cmp_ne_u32_e64 s2, 0, v11
	s_delay_alu instid0(VALU_DEP_4) | instskip(NEXT) | instid1(VALU_DEP_1)
	v_dual_cndmask_b32 v1, v19, v17, vcc_lo :: v_dual_cndmask_b32 v11, v18, v16, vcc_lo
	v_dual_cndmask_b32 v1, v9, v1, s2 :: v_dual_cndmask_b32 v8, v8, v11, s2
	s_delay_alu instid0(VALU_DEP_1) | instskip(NEXT) | instid1(VALU_DEP_2)
	v_dual_mov_b32 v11, v10 :: v_dual_bitop2_b32 v9, v1, v10 bitop3:0x14
	v_xor_b32_e32 v8, v8, v10
	s_delay_alu instid0(VALU_DEP_1)
	v_sub_nc_u64_e32 v[16:17], v[8:9], v[10:11]
                                        ; implicit-def: $vgpr10
                                        ; implicit-def: $vgpr8_vgpr9
	s_and_not1_saveexec_b32 s2, s3
	s_cbranch_execz .LBB9_37
.LBB9_39:                               ;   in Loop: Header=BB9_27 Depth=2
	v_rcp_iflag_f32_e32 v1, v10
	s_sub_co_i32 s3, 0, s18
	v_nop
	s_delay_alu instid0(TRANS32_DEP_1) | instskip(NEXT) | instid1(VALU_DEP_1)
	v_mul_f32_e32 v1, 0x4f7ffffe, v1
	v_cvt_u32_f32_e32 v1, v1
	s_delay_alu instid0(VALU_DEP_1) | instskip(NEXT) | instid1(VALU_DEP_1)
	v_mul_lo_u32 v9, s3, v1
	v_mul_hi_u32 v9, v1, v9
	s_delay_alu instid0(VALU_DEP_1) | instskip(NEXT) | instid1(VALU_DEP_1)
	v_add_nc_u32_e32 v1, v1, v9
	v_mul_hi_u32 v1, v8, v1
	s_delay_alu instid0(VALU_DEP_1) | instskip(NEXT) | instid1(VALU_DEP_1)
	v_mul_lo_u32 v9, v1, s18
	v_sub_nc_u32_e32 v8, v8, v9
	v_add_nc_u32_e32 v9, 1, v1
	s_delay_alu instid0(VALU_DEP_2) | instskip(SKIP_1) | instid1(VALU_DEP_2)
	v_subrev_nc_u32_e32 v10, s18, v8
	v_cmp_le_u32_e32 vcc_lo, s18, v8
	v_dual_cndmask_b32 v8, v8, v10 :: v_dual_cndmask_b32 v1, v1, v9
	s_delay_alu instid0(VALU_DEP_1) | instskip(NEXT) | instid1(VALU_DEP_2)
	v_cmp_le_u32_e32 vcc_lo, s18, v8
	v_add_nc_u32_e32 v9, 1, v1
	s_delay_alu instid0(VALU_DEP_1) | instskip(SKIP_1) | instid1(SALU_CYCLE_1)
	v_cndmask_b32_e32 v16, v1, v9, vcc_lo
	s_or_b32 exec_lo, exec_lo, s2
	s_and_not1_b32 vcc_lo, exec_lo, s50
	s_cbranch_vccnz .LBB9_26
.LBB9_40:                               ;   in Loop: Header=BB9_27 Depth=2
	v_mad_u32 v8, v12, s22, v14
	v_add_nc_u32_e32 v38, 1, v16
	s_mov_b64 s[36:37], s[28:29]
	s_mov_b32 s38, s4
	s_delay_alu instid0(VALU_DEP_2) | instskip(NEXT) | instid1(VALU_DEP_2)
	v_ashrrev_i32_e32 v9, 31, v8
	v_cmp_gt_i32_e64 s2, v38, v8
	s_delay_alu instid0(VALU_DEP_2) | instskip(NEXT) | instid1(VALU_DEP_1)
	v_add_nc_u64_e32 v[18:19], 1, v[8:9]
	v_mad_nc_u64_u32 v[10:11], s18, v18, -1
	s_delay_alu instid0(VALU_DEP_1) | instskip(SKIP_2) | instid1(VALU_DEP_2)
	v_mad_u32 v1, s19, v18, v11
	v_add_nc_u32_e32 v11, v36, v12
	v_lshl_add_u64 v[12:13], v[6:7], 2, v[4:5]
	v_mad_u32 v37, s9, v11, v14
	s_delay_alu instid0(VALU_DEP_4)
	v_mad_u32 v11, s18, v19, v1
	s_branch .LBB9_42
.LBB9_41:                               ;   in Loop: Header=BB9_42 Depth=3
	s_or_b32 exec_lo, exec_lo, s39
	s_add_co_i32 s38, s38, 1
	s_add_nc_u64 s[36:37], s[36:37], s[30:31]
	s_cmp_lt_i32 s38, s33
	s_cbranch_scc0 .LBB9_26
.LBB9_42:                               ;   Parent Loop BB9_12 Depth=1
                                        ;     Parent Loop BB9_27 Depth=2
                                        ; =>    This Loop Header: Depth=3
                                        ;         Child Loop BB9_54 Depth 4
                                        ;           Child Loop BB9_69 Depth 5
	s_ashr_i32 s39, s38, 31
	s_delay_alu instid0(SALU_CYCLE_1) | instskip(NEXT) | instid1(SALU_CYCLE_1)
	s_add_nc_u64 s[40:41], s[38:39], 1
	s_mul_u64 s[40:41], s[40:41], s[10:11]
	s_delay_alu instid0(SALU_CYCLE_1) | instskip(NEXT) | instid1(SALU_CYCLE_1)
	s_add_nc_u64 s[42:43], s[40:41], -1
	s_or_b64 s[40:41], s[42:43], s[12:13]
	s_delay_alu instid0(SALU_CYCLE_1) | instskip(NEXT) | instid1(SALU_CYCLE_1)
	s_and_b64 s[40:41], s[40:41], 0xffffffff00000000
	s_cmp_lg_u64 s[40:41], 0
	s_cbranch_scc0 .LBB9_81
; %bb.43:                               ;   in Loop: Header=BB9_42 Depth=3
	s_ashr_i32 s40, s13, 31
	s_delay_alu instid0(SALU_CYCLE_1) | instskip(NEXT) | instid1(SALU_CYCLE_1)
	s_mov_b32 s41, s40
	s_add_nc_u64 s[44:45], s[12:13], s[40:41]
	s_delay_alu instid0(SALU_CYCLE_1) | instskip(NEXT) | instid1(SALU_CYCLE_1)
	s_xor_b64 s[44:45], s[44:45], s[40:41]
	s_cvt_f32_u32 s3, s44
	s_cvt_f32_u32 s14, s45
	s_sub_nc_u64 s[48:49], 0, s[44:45]
	s_delay_alu instid0(SALU_CYCLE_2) | instskip(NEXT) | instid1(SALU_CYCLE_3)
	s_fmamk_f32 s3, s14, 0x4f800000, s3
	v_s_rcp_f32 s3, s3
	s_delay_alu instid0(TRANS32_DEP_1) | instskip(NEXT) | instid1(SALU_CYCLE_3)
	s_mul_f32 s3, s3, 0x5f7ffffc
	s_mul_f32 s14, s3, 0x2f800000
	s_delay_alu instid0(SALU_CYCLE_3) | instskip(NEXT) | instid1(SALU_CYCLE_3)
	s_trunc_f32 s14, s14
	s_fmamk_f32 s3, s14, 0xcf800000, s3
	s_cvt_u32_f32 s47, s14
	s_delay_alu instid0(SALU_CYCLE_2) | instskip(NEXT) | instid1(SALU_CYCLE_3)
	s_cvt_u32_f32 s46, s3
	s_mul_u64 s[56:57], s[48:49], s[46:47]
	s_delay_alu instid0(SALU_CYCLE_1)
	s_mul_hi_u32 s59, s46, s57
	s_mul_i32 s58, s46, s57
	s_mul_hi_u32 s14, s46, s56
	s_mul_i32 s60, s47, s56
	s_add_nc_u64 s[58:59], s[14:15], s[58:59]
	s_mul_hi_u32 s3, s47, s56
	s_mul_hi_u32 s61, s47, s57
	s_add_co_u32 s14, s58, s60
	s_add_co_ci_u32 s14, s59, s3
	s_mul_i32 s56, s47, s57
	s_add_co_ci_u32 s57, s61, 0
	s_delay_alu instid0(SALU_CYCLE_1) | instskip(NEXT) | instid1(SALU_CYCLE_1)
	s_add_nc_u64 s[56:57], s[14:15], s[56:57]
	s_add_co_u32 s46, s46, s56
	s_cselect_b32 s3, -1, 0
	s_delay_alu instid0(SALU_CYCLE_1) | instskip(SKIP_1) | instid1(SALU_CYCLE_1)
	s_cmp_lg_u32 s3, 0
	s_add_co_ci_u32 s47, s47, s57
	s_mul_u64 s[48:49], s[48:49], s[46:47]
	s_delay_alu instid0(SALU_CYCLE_1)
	s_mul_hi_u32 s57, s46, s49
	s_mul_i32 s56, s46, s49
	s_mul_hi_u32 s14, s46, s48
	s_mul_i32 s58, s47, s48
	s_add_nc_u64 s[56:57], s[14:15], s[56:57]
	s_mul_hi_u32 s3, s47, s48
	s_mul_hi_u32 s59, s47, s49
	s_add_co_u32 s14, s56, s58
	s_add_co_ci_u32 s14, s57, s3
	s_mul_i32 s48, s47, s49
	s_add_co_ci_u32 s49, s59, 0
	s_delay_alu instid0(SALU_CYCLE_1) | instskip(NEXT) | instid1(SALU_CYCLE_1)
	s_add_nc_u64 s[48:49], s[14:15], s[48:49]
	s_add_co_u32 s3, s46, s48
	s_cselect_b32 s14, -1, 0
	s_delay_alu instid0(SALU_CYCLE_1) | instskip(SKIP_2) | instid1(SALU_CYCLE_1)
	s_cmp_lg_u32 s14, 0
	s_add_co_ci_u32 s58, s47, s49
	s_ashr_i32 s46, s43, 31
	s_mov_b32 s47, s46
	s_delay_alu instid0(SALU_CYCLE_1) | instskip(NEXT) | instid1(SALU_CYCLE_1)
	s_add_nc_u64 s[48:49], s[42:43], s[46:47]
	s_xor_b64 s[48:49], s[48:49], s[46:47]
	s_delay_alu instid0(SALU_CYCLE_1)
	s_mul_hi_u32 s57, s48, s58
	s_mul_i32 s56, s48, s58
	s_mul_hi_u32 s14, s48, s3
	s_mul_hi_u32 s59, s49, s3
	s_mul_i32 s3, s49, s3
	s_add_nc_u64 s[56:57], s[14:15], s[56:57]
	s_mul_hi_u32 s43, s49, s58
	s_add_co_u32 s3, s56, s3
	s_add_co_ci_u32 s14, s57, s59
	s_mul_i32 s58, s49, s58
	s_add_co_ci_u32 s59, s43, 0
	s_delay_alu instid0(SALU_CYCLE_1) | instskip(NEXT) | instid1(SALU_CYCLE_1)
	s_add_nc_u64 s[56:57], s[14:15], s[58:59]
	s_and_b64 s[58:59], s[56:57], 0xffffffff00000000
	s_delay_alu instid0(SALU_CYCLE_1) | instskip(NEXT) | instid1(SALU_CYCLE_1)
	s_or_b32 s58, s58, s56
	s_mul_u64 s[56:57], s[44:45], s[58:59]
	s_add_nc_u64 s[60:61], s[58:59], 1
	s_sub_co_u32 s3, s48, s56
	s_cselect_b32 s14, -1, 0
	s_sub_co_i32 s43, s49, s57
	s_cmp_lg_u32 s14, 0
	s_add_nc_u64 s[62:63], s[58:59], 2
	s_sub_co_ci_u32 s43, s43, s45
	s_sub_co_u32 s48, s3, s44
	s_cselect_b32 s56, -1, 0
	s_delay_alu instid0(SALU_CYCLE_1) | instskip(SKIP_1) | instid1(SALU_CYCLE_1)
	s_cmp_lg_u32 s56, 0
	s_sub_co_ci_u32 s43, s43, 0
	s_cmp_ge_u32 s43, s45
	s_cselect_b32 s56, -1, 0
	s_cmp_ge_u32 s48, s44
	s_cselect_b32 s48, -1, 0
	s_cmp_eq_u32 s43, s45
	s_cselect_b32 s43, s48, s56
	s_delay_alu instid0(SALU_CYCLE_1) | instskip(SKIP_4) | instid1(SALU_CYCLE_1)
	s_cmp_lg_u32 s43, 0
	s_cselect_b32 s43, s62, s60
	s_cselect_b32 s48, s63, s61
	s_cmp_lg_u32 s14, 0
	s_sub_co_ci_u32 s14, s49, s57
	s_cmp_ge_u32 s14, s45
	s_cselect_b32 s49, -1, 0
	s_cmp_ge_u32 s3, s44
	s_cselect_b32 s3, -1, 0
	s_cmp_eq_u32 s14, s45
	s_cselect_b32 s3, s3, s49
	s_delay_alu instid0(SALU_CYCLE_1) | instskip(SKIP_3) | instid1(SALU_CYCLE_1)
	s_cmp_lg_u32 s3, 0
	s_cselect_b32 s45, s48, s59
	s_cselect_b32 s44, s43, s58
	s_xor_b64 s[40:41], s[46:47], s[40:41]
	s_xor_b64 s[44:45], s[44:45], s[40:41]
	s_delay_alu instid0(SALU_CYCLE_1) | instskip(SKIP_1) | instid1(VALU_DEP_1)
	s_sub_nc_u64 s[40:41], s[44:45], s[40:41]
	v_cvt_f32_u32_e32 v1, s12
	v_rcp_iflag_f32_e32 v1, v1
	s_cbranch_execnz .LBB9_45
.LBB9_44:                               ;   in Loop: Header=BB9_42 Depth=3
	v_nop
	s_delay_alu instid0(TRANS32_DEP_1) | instskip(SKIP_1) | instid1(VALU_DEP_1)
	v_mul_f32_e32 v7, 0x4f7ffffe, v1
	s_sub_co_i32 s14, 0, s12
	v_cvt_u32_f32_e32 v7, v7
	s_delay_alu instid0(VALU_DEP_1) | instskip(SKIP_1) | instid1(SALU_CYCLE_1)
	v_readfirstlane_b32 s3, v7
	s_mul_i32 s14, s14, s3
	s_mul_hi_u32 s14, s3, s14
	s_delay_alu instid0(SALU_CYCLE_1) | instskip(NEXT) | instid1(SALU_CYCLE_1)
	s_add_co_i32 s3, s3, s14
	s_mul_hi_u32 s3, s42, s3
	s_delay_alu instid0(SALU_CYCLE_1) | instskip(SKIP_2) | instid1(SALU_CYCLE_1)
	s_mul_i32 s14, s3, s12
	s_add_co_i32 s40, s3, 1
	s_sub_co_i32 s14, s42, s14
	s_sub_co_i32 s41, s14, s12
	s_cmp_ge_u32 s14, s12
	s_cselect_b32 s3, s40, s3
	s_cselect_b32 s14, s41, s14
	s_add_co_i32 s40, s3, 1
	s_cmp_ge_u32 s14, s12
	s_cselect_b32 s40, s40, s3
.LBB9_45:                               ;   in Loop: Header=BB9_42 Depth=3
	s_or_b64 s[42:43], s[38:39], s[12:13]
	s_delay_alu instid0(SALU_CYCLE_1) | instskip(NEXT) | instid1(SALU_CYCLE_1)
	s_and_b64 s[42:43], s[42:43], 0xffffffff00000000
	s_cmp_lg_u64 s[42:43], 0
	s_cbranch_scc0 .LBB9_82
; %bb.46:                               ;   in Loop: Header=BB9_42 Depth=3
	s_ashr_i32 s42, s13, 31
	s_delay_alu instid0(SALU_CYCLE_1) | instskip(NEXT) | instid1(SALU_CYCLE_1)
	s_mov_b32 s43, s42
	s_add_nc_u64 s[44:45], s[12:13], s[42:43]
	s_delay_alu instid0(SALU_CYCLE_1) | instskip(NEXT) | instid1(SALU_CYCLE_1)
	s_xor_b64 s[44:45], s[44:45], s[42:43]
	s_cvt_f32_u32 s3, s44
	s_cvt_f32_u32 s14, s45
	s_sub_nc_u64 s[48:49], 0, s[44:45]
	s_delay_alu instid0(SALU_CYCLE_2) | instskip(NEXT) | instid1(SALU_CYCLE_3)
	s_fmamk_f32 s3, s14, 0x4f800000, s3
	v_s_rcp_f32 s3, s3
	s_delay_alu instid0(TRANS32_DEP_1) | instskip(NEXT) | instid1(SALU_CYCLE_3)
	s_mul_f32 s3, s3, 0x5f7ffffc
	s_mul_f32 s14, s3, 0x2f800000
	s_delay_alu instid0(SALU_CYCLE_3) | instskip(NEXT) | instid1(SALU_CYCLE_3)
	s_trunc_f32 s14, s14
	s_fmamk_f32 s3, s14, 0xcf800000, s3
	s_cvt_u32_f32 s47, s14
	s_delay_alu instid0(SALU_CYCLE_2) | instskip(NEXT) | instid1(SALU_CYCLE_3)
	s_cvt_u32_f32 s46, s3
	s_mul_u64 s[56:57], s[48:49], s[46:47]
	s_delay_alu instid0(SALU_CYCLE_1)
	s_mul_hi_u32 s59, s46, s57
	s_mul_i32 s58, s46, s57
	s_mul_hi_u32 s14, s46, s56
	s_mul_i32 s41, s47, s56
	s_add_nc_u64 s[58:59], s[14:15], s[58:59]
	s_mul_hi_u32 s3, s47, s56
	s_mul_hi_u32 s60, s47, s57
	s_add_co_u32 s14, s58, s41
	s_add_co_ci_u32 s14, s59, s3
	s_mul_i32 s56, s47, s57
	s_add_co_ci_u32 s57, s60, 0
	s_delay_alu instid0(SALU_CYCLE_1) | instskip(NEXT) | instid1(SALU_CYCLE_1)
	s_add_nc_u64 s[56:57], s[14:15], s[56:57]
	s_add_co_u32 s46, s46, s56
	s_cselect_b32 s3, -1, 0
	s_delay_alu instid0(SALU_CYCLE_1) | instskip(SKIP_1) | instid1(SALU_CYCLE_1)
	s_cmp_lg_u32 s3, 0
	s_add_co_ci_u32 s47, s47, s57
	s_mul_u64 s[48:49], s[48:49], s[46:47]
	s_delay_alu instid0(SALU_CYCLE_1)
	s_mul_hi_u32 s57, s46, s49
	s_mul_i32 s56, s46, s49
	s_mul_hi_u32 s14, s46, s48
	s_mul_i32 s41, s47, s48
	s_add_nc_u64 s[56:57], s[14:15], s[56:57]
	s_mul_hi_u32 s3, s47, s48
	s_mul_hi_u32 s58, s47, s49
	s_add_co_u32 s14, s56, s41
	s_add_co_ci_u32 s14, s57, s3
	s_mul_i32 s48, s47, s49
	s_add_co_ci_u32 s49, s58, 0
	s_delay_alu instid0(SALU_CYCLE_1) | instskip(NEXT) | instid1(SALU_CYCLE_1)
	s_add_nc_u64 s[48:49], s[14:15], s[48:49]
	s_add_co_u32 s3, s46, s48
	s_cselect_b32 s14, -1, 0
	s_delay_alu instid0(SALU_CYCLE_1) | instskip(SKIP_2) | instid1(SALU_CYCLE_1)
	s_cmp_lg_u32 s14, 0
	s_add_co_ci_u32 s41, s47, s49
	s_ashr_i32 s46, s39, 31
	s_mov_b32 s47, s46
	s_delay_alu instid0(SALU_CYCLE_1) | instskip(NEXT) | instid1(SALU_CYCLE_1)
	s_add_nc_u64 s[48:49], s[38:39], s[46:47]
	s_xor_b64 s[48:49], s[48:49], s[46:47]
	s_delay_alu instid0(SALU_CYCLE_1)
	s_mul_hi_u32 s57, s48, s41
	s_mul_i32 s56, s48, s41
	s_mul_hi_u32 s14, s48, s3
	s_mul_hi_u32 s60, s49, s3
	s_mul_i32 s3, s49, s3
	s_add_nc_u64 s[56:57], s[14:15], s[56:57]
	s_mul_hi_u32 s59, s49, s41
	s_add_co_u32 s3, s56, s3
	s_add_co_ci_u32 s14, s57, s60
	s_mul_i32 s58, s49, s41
	s_add_co_ci_u32 s59, s59, 0
	s_delay_alu instid0(SALU_CYCLE_1) | instskip(NEXT) | instid1(SALU_CYCLE_1)
	s_add_nc_u64 s[56:57], s[14:15], s[58:59]
	s_and_b64 s[58:59], s[56:57], 0xffffffff00000000
	s_delay_alu instid0(SALU_CYCLE_1) | instskip(NEXT) | instid1(SALU_CYCLE_1)
	s_or_b32 s58, s58, s56
	s_mul_u64 s[56:57], s[44:45], s[58:59]
	s_add_nc_u64 s[60:61], s[58:59], 1
	s_sub_co_u32 s3, s48, s56
	s_cselect_b32 s14, -1, 0
	s_sub_co_i32 s41, s49, s57
	s_cmp_lg_u32 s14, 0
	s_add_nc_u64 s[62:63], s[58:59], 2
	s_sub_co_ci_u32 s41, s41, s45
	s_sub_co_u32 s48, s3, s44
	s_cselect_b32 s56, -1, 0
	s_delay_alu instid0(SALU_CYCLE_1) | instskip(SKIP_1) | instid1(SALU_CYCLE_1)
	s_cmp_lg_u32 s56, 0
	s_sub_co_ci_u32 s41, s41, 0
	s_cmp_ge_u32 s41, s45
	s_cselect_b32 s56, -1, 0
	s_cmp_ge_u32 s48, s44
	s_cselect_b32 s48, -1, 0
	s_cmp_eq_u32 s41, s45
	s_cselect_b32 s41, s48, s56
	s_delay_alu instid0(SALU_CYCLE_1) | instskip(SKIP_4) | instid1(SALU_CYCLE_1)
	s_cmp_lg_u32 s41, 0
	s_cselect_b32 s41, s62, s60
	s_cselect_b32 s48, s63, s61
	s_cmp_lg_u32 s14, 0
	s_sub_co_ci_u32 s14, s49, s57
	s_cmp_ge_u32 s14, s45
	s_cselect_b32 s49, -1, 0
	s_cmp_ge_u32 s3, s44
	s_cselect_b32 s3, -1, 0
	s_cmp_eq_u32 s14, s45
	s_cselect_b32 s3, s3, s49
	s_delay_alu instid0(SALU_CYCLE_1) | instskip(SKIP_3) | instid1(SALU_CYCLE_1)
	s_cmp_lg_u32 s3, 0
	s_cselect_b32 s45, s48, s59
	s_cselect_b32 s44, s41, s58
	s_xor_b64 s[42:43], s[46:47], s[42:43]
	s_xor_b64 s[44:45], s[44:45], s[42:43]
	s_delay_alu instid0(SALU_CYCLE_1)
	s_sub_nc_u64 s[42:43], s[44:45], s[42:43]
	s_cbranch_execnz .LBB9_48
.LBB9_47:                               ;   in Loop: Header=BB9_42 Depth=3
	v_nop
	v_mul_f32_e32 v7, 0x4f7ffffe, v1
	s_sub_co_i32 s14, 0, s12
	s_delay_alu instid0(VALU_DEP_1) | instskip(NEXT) | instid1(VALU_DEP_1)
	v_cvt_u32_f32_e32 v7, v7
	v_readfirstlane_b32 s3, v7
	s_mul_i32 s14, s14, s3
	s_delay_alu instid0(SALU_CYCLE_1) | instskip(NEXT) | instid1(SALU_CYCLE_1)
	s_mul_hi_u32 s14, s3, s14
	s_add_co_i32 s3, s3, s14
	s_delay_alu instid0(SALU_CYCLE_1) | instskip(NEXT) | instid1(SALU_CYCLE_1)
	s_mul_hi_u32 s3, s38, s3
	s_mul_i32 s14, s3, s12
	s_add_co_i32 s41, s3, 1
	s_sub_co_i32 s14, s38, s14
	s_delay_alu instid0(SALU_CYCLE_1)
	s_sub_co_i32 s42, s14, s12
	s_cmp_ge_u32 s14, s12
	s_cselect_b32 s3, s41, s3
	s_cselect_b32 s14, s42, s14
	s_add_co_i32 s41, s3, 1
	s_cmp_ge_u32 s14, s12
	s_cselect_b32 s14, s41, s3
	s_delay_alu instid0(SALU_CYCLE_1)
	s_mov_b64 s[42:43], s[14:15]
.LBB9_48:                               ;   in Loop: Header=BB9_42 Depth=3
	s_delay_alu instid0(SALU_CYCLE_1) | instskip(NEXT) | instid1(SALU_CYCLE_1)
	s_mul_u64 s[44:45], s[42:43], s[12:13]
	s_sub_nc_u64 s[44:45], s[38:39], s[44:45]
	s_delay_alu instid0(SALU_CYCLE_1) | instskip(NEXT) | instid1(SALU_CYCLE_1)
	s_mul_u64 s[44:45], s[44:45], s[10:11]
	s_or_b64 s[46:47], s[44:45], s[12:13]
	s_delay_alu instid0(SALU_CYCLE_1) | instskip(NEXT) | instid1(SALU_CYCLE_1)
	s_and_b64 s[46:47], s[46:47], 0xffffffff00000000
	s_cmp_lg_u64 s[46:47], 0
	s_cbranch_scc0 .LBB9_83
; %bb.49:                               ;   in Loop: Header=BB9_42 Depth=3
	s_ashr_i32 s46, s13, 31
	s_delay_alu instid0(SALU_CYCLE_1) | instskip(NEXT) | instid1(SALU_CYCLE_1)
	s_mov_b32 s47, s46
	s_add_nc_u64 s[48:49], s[12:13], s[46:47]
	s_delay_alu instid0(SALU_CYCLE_1) | instskip(NEXT) | instid1(SALU_CYCLE_1)
	s_xor_b64 s[48:49], s[48:49], s[46:47]
	s_cvt_f32_u32 s3, s48
	s_cvt_f32_u32 s14, s49
	s_sub_nc_u64 s[58:59], 0, s[48:49]
	s_delay_alu instid0(SALU_CYCLE_2) | instskip(NEXT) | instid1(SALU_CYCLE_3)
	s_fmamk_f32 s3, s14, 0x4f800000, s3
	v_s_rcp_f32 s3, s3
	s_delay_alu instid0(TRANS32_DEP_1) | instskip(NEXT) | instid1(SALU_CYCLE_3)
	s_mul_f32 s3, s3, 0x5f7ffffc
	s_mul_f32 s14, s3, 0x2f800000
	s_delay_alu instid0(SALU_CYCLE_3) | instskip(NEXT) | instid1(SALU_CYCLE_3)
	s_trunc_f32 s14, s14
	s_fmamk_f32 s3, s14, 0xcf800000, s3
	s_cvt_u32_f32 s57, s14
	s_delay_alu instid0(SALU_CYCLE_2) | instskip(NEXT) | instid1(SALU_CYCLE_3)
	s_cvt_u32_f32 s56, s3
	s_mul_u64 s[60:61], s[58:59], s[56:57]
	s_delay_alu instid0(SALU_CYCLE_1)
	s_mul_hi_u32 s63, s56, s61
	s_mul_i32 s62, s56, s61
	s_mul_hi_u32 s14, s56, s60
	s_mul_i32 s39, s57, s60
	s_add_nc_u64 s[62:63], s[14:15], s[62:63]
	s_mul_hi_u32 s3, s57, s60
	s_mul_hi_u32 s41, s57, s61
	s_add_co_u32 s14, s62, s39
	s_add_co_ci_u32 s14, s63, s3
	s_mul_i32 s60, s57, s61
	s_add_co_ci_u32 s61, s41, 0
	s_delay_alu instid0(SALU_CYCLE_1) | instskip(NEXT) | instid1(SALU_CYCLE_1)
	s_add_nc_u64 s[60:61], s[14:15], s[60:61]
	s_add_co_u32 s56, s56, s60
	s_cselect_b32 s3, -1, 0
	s_delay_alu instid0(SALU_CYCLE_1) | instskip(SKIP_1) | instid1(SALU_CYCLE_1)
	s_cmp_lg_u32 s3, 0
	s_add_co_ci_u32 s57, s57, s61
	s_mul_u64 s[58:59], s[58:59], s[56:57]
	s_delay_alu instid0(SALU_CYCLE_1)
	s_mul_hi_u32 s61, s56, s59
	s_mul_i32 s60, s56, s59
	s_mul_hi_u32 s14, s56, s58
	s_mul_i32 s39, s57, s58
	s_add_nc_u64 s[60:61], s[14:15], s[60:61]
	s_mul_hi_u32 s3, s57, s58
	s_mul_hi_u32 s41, s57, s59
	s_add_co_u32 s14, s60, s39
	s_add_co_ci_u32 s14, s61, s3
	s_mul_i32 s58, s57, s59
	s_add_co_ci_u32 s59, s41, 0
	s_delay_alu instid0(SALU_CYCLE_1) | instskip(NEXT) | instid1(SALU_CYCLE_1)
	s_add_nc_u64 s[58:59], s[14:15], s[58:59]
	s_add_co_u32 s3, s56, s58
	s_cselect_b32 s14, -1, 0
	s_delay_alu instid0(SALU_CYCLE_1) | instskip(SKIP_2) | instid1(SALU_CYCLE_1)
	s_cmp_lg_u32 s14, 0
	s_add_co_ci_u32 s39, s57, s59
	s_ashr_i32 s56, s45, 31
	s_mov_b32 s57, s56
	s_delay_alu instid0(SALU_CYCLE_1) | instskip(NEXT) | instid1(SALU_CYCLE_1)
	s_add_nc_u64 s[58:59], s[44:45], s[56:57]
	s_xor_b64 s[58:59], s[58:59], s[56:57]
	s_delay_alu instid0(SALU_CYCLE_1)
	s_mul_hi_u32 s61, s58, s39
	s_mul_i32 s60, s58, s39
	s_mul_hi_u32 s14, s58, s3
	s_mul_hi_u32 s43, s59, s3
	s_mul_i32 s3, s59, s3
	s_add_nc_u64 s[60:61], s[14:15], s[60:61]
	s_mul_hi_u32 s41, s59, s39
	s_add_co_u32 s3, s60, s3
	s_add_co_ci_u32 s14, s61, s43
	s_mul_i32 s62, s59, s39
	s_add_co_ci_u32 s63, s41, 0
	s_delay_alu instid0(SALU_CYCLE_1) | instskip(NEXT) | instid1(SALU_CYCLE_1)
	s_add_nc_u64 s[60:61], s[14:15], s[62:63]
	s_and_b64 s[62:63], s[60:61], 0xffffffff00000000
	s_delay_alu instid0(SALU_CYCLE_1) | instskip(NEXT) | instid1(SALU_CYCLE_1)
	s_or_b32 s62, s62, s60
	s_mul_u64 s[60:61], s[48:49], s[62:63]
	s_add_nc_u64 s[64:65], s[62:63], 1
	s_sub_co_u32 s3, s58, s60
	s_cselect_b32 s14, -1, 0
	s_sub_co_i32 s39, s59, s61
	s_cmp_lg_u32 s14, 0
	s_add_nc_u64 s[66:67], s[62:63], 2
	s_sub_co_ci_u32 s39, s39, s49
	s_sub_co_u32 s41, s3, s48
	s_cselect_b32 s43, -1, 0
	s_delay_alu instid0(SALU_CYCLE_1) | instskip(SKIP_1) | instid1(SALU_CYCLE_1)
	s_cmp_lg_u32 s43, 0
	s_sub_co_ci_u32 s39, s39, 0
	s_cmp_ge_u32 s39, s49
	s_cselect_b32 s43, -1, 0
	s_cmp_ge_u32 s41, s48
	s_cselect_b32 s41, -1, 0
	s_cmp_eq_u32 s39, s49
	s_cselect_b32 s39, s41, s43
	s_delay_alu instid0(SALU_CYCLE_1) | instskip(SKIP_4) | instid1(SALU_CYCLE_1)
	s_cmp_lg_u32 s39, 0
	s_cselect_b32 s39, s66, s64
	s_cselect_b32 s41, s67, s65
	s_cmp_lg_u32 s14, 0
	s_sub_co_ci_u32 s14, s59, s61
	s_cmp_ge_u32 s14, s49
	s_cselect_b32 s43, -1, 0
	s_cmp_ge_u32 s3, s48
	s_cselect_b32 s3, -1, 0
	s_cmp_eq_u32 s14, s49
	s_cselect_b32 s3, s3, s43
	s_delay_alu instid0(SALU_CYCLE_1) | instskip(SKIP_3) | instid1(SALU_CYCLE_1)
	s_cmp_lg_u32 s3, 0
	s_cselect_b32 s49, s41, s63
	s_cselect_b32 s48, s39, s62
	s_xor_b64 s[46:47], s[56:57], s[46:47]
	s_xor_b64 s[48:49], s[48:49], s[46:47]
	s_delay_alu instid0(SALU_CYCLE_1)
	s_sub_nc_u64 s[46:47], s[48:49], s[46:47]
	s_cbranch_execnz .LBB9_51
.LBB9_50:                               ;   in Loop: Header=BB9_42 Depth=3
	v_mul_f32_e32 v1, 0x4f7ffffe, v1
	s_sub_co_i32 s14, 0, s12
	s_delay_alu instid0(VALU_DEP_1) | instskip(NEXT) | instid1(VALU_DEP_1)
	v_cvt_u32_f32_e32 v1, v1
	v_readfirstlane_b32 s3, v1
	s_mul_i32 s14, s14, s3
	s_delay_alu instid0(SALU_CYCLE_1) | instskip(NEXT) | instid1(SALU_CYCLE_1)
	s_mul_hi_u32 s14, s3, s14
	s_add_co_i32 s3, s3, s14
	s_delay_alu instid0(SALU_CYCLE_1) | instskip(NEXT) | instid1(SALU_CYCLE_1)
	s_mul_hi_u32 s3, s44, s3
	s_mul_i32 s14, s3, s12
	s_add_co_i32 s39, s3, 1
	s_sub_co_i32 s14, s44, s14
	s_delay_alu instid0(SALU_CYCLE_1)
	s_sub_co_i32 s41, s14, s12
	s_cmp_ge_u32 s14, s12
	s_cselect_b32 s3, s39, s3
	s_cselect_b32 s14, s41, s14
	s_add_co_i32 s39, s3, 1
	s_cmp_ge_u32 s14, s12
	s_cselect_b32 s46, s39, s3
.LBB9_51:                               ;   in Loop: Header=BB9_42 Depth=3
	s_and_saveexec_b32 s39, s1
	s_cbranch_execz .LBB9_41
; %bb.52:                               ;   in Loop: Header=BB9_42 Depth=3
	s_mul_i32 s3, s42, s10
	v_dual_mov_b32 v14, v37 :: v_dual_mov_b32 v16, v3
	s_add_co_i32 s3, s3, s46
	s_mov_b32 s45, 0
	s_sub_co_i32 s44, s40, s3
	s_delay_alu instid0(SALU_CYCLE_1)
	s_add_co_i32 s44, s44, 1
	s_branch .LBB9_54
.LBB9_53:                               ;   in Loop: Header=BB9_54 Depth=4
	s_or_b32 exec_lo, exec_lo, s46
	v_dual_add_nc_u32 v16, 1, v16 :: v_dual_add_nc_u32 v14, s9, v14
	s_delay_alu instid0(VALU_DEP_1) | instskip(SKIP_1) | instid1(SALU_CYCLE_1)
	v_cmp_ge_i32_e32 vcc_lo, v16, v35
	s_or_b32 s45, vcc_lo, s45
	s_and_not1_b32 exec_lo, exec_lo, s45
	s_cbranch_execz .LBB9_41
.LBB9_54:                               ;   Parent Loop BB9_12 Depth=1
                                        ;     Parent Loop BB9_27 Depth=2
                                        ;       Parent Loop BB9_42 Depth=3
                                        ; =>      This Loop Header: Depth=4
                                        ;           Child Loop BB9_69 Depth 5
	s_and_saveexec_b32 s46, s2
	s_cbranch_execz .LBB9_53
; %bb.55:                               ;   in Loop: Header=BB9_54 Depth=4
	v_ashrrev_i32_e32 v17, 31, v16
	s_mov_b32 s3, exec_lo
	s_delay_alu instid0(VALU_DEP_1) | instskip(NEXT) | instid1(VALU_DEP_1)
	v_add_nc_u64_e32 v[18:19], 1, v[16:17]
	v_mad_nc_u64_u32 v[20:21], v18, s16, -1
	s_delay_alu instid0(VALU_DEP_1) | instskip(NEXT) | instid1(VALU_DEP_1)
	v_mad_u32 v1, v19, s16, v21
	v_mad_u32 v21, v18, s17, v1
                                        ; implicit-def: $vgpr18_vgpr19
	s_delay_alu instid0(VALU_DEP_1) | instskip(NEXT) | instid1(VALU_DEP_1)
	v_or_b32_e32 v1, s21, v21
	v_cmpx_ne_u64_e32 0, v[0:1]
	s_xor_b32 s47, exec_lo, s3
	s_cbranch_execz .LBB9_57
; %bb.56:                               ;   in Loop: Header=BB9_54 Depth=4
	s_ashr_i32 s40, s21, 31
	v_dual_mov_b32 v23, v0 :: v_dual_ashrrev_i32 v18, 31, v21
	s_mov_b32 s41, s40
	s_delay_alu instid0(SALU_CYCLE_1) | instskip(NEXT) | instid1(VALU_DEP_1)
	s_add_nc_u64 s[42:43], s[20:21], s[40:41]
	v_mov_b32_e32 v19, v18
	s_xor_b64 s[42:43], s[42:43], s[40:41]
	s_delay_alu instid0(SALU_CYCLE_1)
	s_cvt_f32_u32 s3, s42
	s_cvt_f32_u32 s14, s43
	s_sub_nc_u64 s[56:57], 0, s[42:43]
	v_add_nc_u64_e32 v[20:21], v[20:21], v[18:19]
	v_mov_b32_e32 v27, v0
	s_fmamk_f32 s3, s14, 0x4f800000, s3
	s_delay_alu instid0(SALU_CYCLE_3) | instskip(NEXT) | instid1(VALU_DEP_2)
	v_s_rcp_f32 s3, s3
	v_xor_b32_e32 v22, v20, v18
	s_delay_alu instid0(VALU_DEP_3) | instskip(SKIP_1) | instid1(TRANS32_DEP_1)
	v_dual_mov_b32 v31, v0 :: v_dual_bitop2_b32 v26, v21, v18 bitop3:0x14
	v_xor_b32_e32 v18, s40, v18
	s_mul_f32 s3, s3, 0x5f7ffffc
	s_delay_alu instid0(SALU_CYCLE_3) | instskip(NEXT) | instid1(SALU_CYCLE_3)
	s_mul_f32 s14, s3, 0x2f800000
	s_trunc_f32 s14, s14
	s_delay_alu instid0(SALU_CYCLE_3) | instskip(SKIP_1) | instid1(SALU_CYCLE_2)
	s_fmamk_f32 s3, s14, 0xcf800000, s3
	s_cvt_u32_f32 s49, s14
	s_cvt_u32_f32 s48, s3
	s_delay_alu instid0(SALU_CYCLE_3) | instskip(NEXT) | instid1(SALU_CYCLE_1)
	s_mul_u64 s[58:59], s[56:57], s[48:49]
	s_mul_hi_u32 s61, s48, s59
	s_mul_i32 s60, s48, s59
	s_mul_hi_u32 s14, s48, s58
	s_mul_i32 s41, s49, s58
	s_add_nc_u64 s[60:61], s[14:15], s[60:61]
	s_mul_hi_u32 s3, s49, s58
	s_mul_hi_u32 s62, s49, s59
	s_add_co_u32 s14, s60, s41
	s_add_co_ci_u32 s14, s61, s3
	s_mul_i32 s58, s49, s59
	s_add_co_ci_u32 s59, s62, 0
	s_delay_alu instid0(SALU_CYCLE_1) | instskip(NEXT) | instid1(SALU_CYCLE_1)
	s_add_nc_u64 s[58:59], s[14:15], s[58:59]
	s_add_co_u32 s48, s48, s58
	s_cselect_b32 s3, -1, 0
	s_delay_alu instid0(SALU_CYCLE_1) | instskip(SKIP_1) | instid1(SALU_CYCLE_1)
	s_cmp_lg_u32 s3, 0
	s_add_co_ci_u32 s49, s49, s59
	s_mul_u64 s[56:57], s[56:57], s[48:49]
	s_delay_alu instid0(SALU_CYCLE_1)
	s_mul_hi_u32 s59, s48, s57
	s_mul_i32 s58, s48, s57
	s_mul_hi_u32 s14, s48, s56
	s_mul_i32 s41, s49, s56
	s_add_nc_u64 s[58:59], s[14:15], s[58:59]
	s_mul_hi_u32 s3, s49, s56
	s_mul_hi_u32 s60, s49, s57
	s_add_co_u32 s14, s58, s41
	s_add_co_ci_u32 s14, s59, s3
	s_mul_i32 s56, s49, s57
	s_add_co_ci_u32 s57, s60, 0
	s_delay_alu instid0(SALU_CYCLE_1) | instskip(NEXT) | instid1(SALU_CYCLE_1)
	s_add_nc_u64 s[56:57], s[14:15], s[56:57]
	s_add_co_u32 s48, s48, s56
	s_cselect_b32 s3, -1, 0
	v_mul_hi_u32 v30, v22, s48
	s_cmp_lg_u32 s3, 0
	s_add_co_ci_u32 s14, s49, s57
	s_and_b64 s[56:57], s[48:49], s[24:25]
	v_mul_u64_e32 v[24:25], s[14:15], v[22:23]
	v_mul_u64_e32 v[20:21], s[56:57], v[26:27]
	;; [unrolled: 1-line block ×3, first 2 shown]
	s_delay_alu instid0(VALU_DEP_3) | instskip(NEXT) | instid1(VALU_DEP_1)
	v_add_nc_u64_e32 v[24:25], v[30:31], v[24:25]
	v_add_co_u32 v1, vcc_lo, v24, v20
	s_delay_alu instid0(VALU_DEP_2) | instskip(NEXT) | instid1(VALU_DEP_4)
	v_add_co_ci_u32_e32 v30, vcc_lo, v25, v21, vcc_lo
	v_add_co_ci_u32_e32 v29, vcc_lo, 0, v29, vcc_lo
	s_delay_alu instid0(VALU_DEP_1) | instskip(NEXT) | instid1(VALU_DEP_1)
	v_add_nc_u64_e32 v[20:21], v[30:31], v[28:29]
	v_mul_u64_e32 v[24:25], s[42:43], v[20:21]
	s_delay_alu instid0(VALU_DEP_1) | instskip(NEXT) | instid1(VALU_DEP_2)
	v_sub_nc_u32_e32 v1, v26, v25
	v_sub_co_u32 v7, vcc_lo, v22, v24
	s_delay_alu instid0(VALU_DEP_1) | instskip(NEXT) | instid1(VALU_DEP_3)
	v_sub_co_ci_u32_e64 v19, null, v26, v25, vcc_lo
	v_subrev_co_ci_u32_e64 v1, null, s43, v1, vcc_lo
	s_delay_alu instid0(VALU_DEP_3) | instskip(SKIP_1) | instid1(VALU_DEP_3)
	v_sub_co_u32 v15, s3, v7, s42
	v_add_nc_u64_e32 v[24:25], 1, v[20:21]
	v_subrev_co_ci_u32_e64 v1, null, 0, v1, s3
	s_delay_alu instid0(VALU_DEP_3) | instskip(SKIP_1) | instid1(VALU_DEP_3)
	v_cmp_le_u32_e32 vcc_lo, s42, v15
	v_cndmask_b32_e64 v15, 0, -1, vcc_lo
	v_cmp_le_u32_e32 vcc_lo, s43, v1
	v_cndmask_b32_e64 v22, 0, -1, vcc_lo
	;; [unrolled: 2-line block ×4, first 2 shown]
	v_cmp_eq_u32_e32 vcc_lo, s43, v1
	v_cndmask_b32_e32 v1, v22, v15, vcc_lo
	v_cmp_eq_u32_e32 vcc_lo, s43, v19
	v_add_nc_u64_e32 v[22:23], 2, v[20:21]
	v_mov_b32_e32 v19, v18
	v_cndmask_b32_e32 v7, v26, v7, vcc_lo
	v_cmp_ne_u32_e32 vcc_lo, 0, v1
	s_delay_alu instid0(VALU_DEP_2) | instskip(SKIP_1) | instid1(VALU_DEP_1)
	v_cmp_ne_u32_e64 s3, 0, v7
	v_dual_cndmask_b32 v1, v25, v23, vcc_lo :: v_dual_cndmask_b32 v7, v24, v22, vcc_lo
	v_dual_cndmask_b32 v1, v21, v1, s3 :: v_dual_cndmask_b32 v7, v20, v7, s3
	s_delay_alu instid0(VALU_DEP_1) | instskip(NEXT) | instid1(VALU_DEP_2)
	v_xor_b32_e32 v21, v1, v18
	v_xor_b32_e32 v20, v7, v18
	s_delay_alu instid0(VALU_DEP_1)
	v_sub_nc_u64_e32 v[18:19], v[20:21], v[18:19]
                                        ; implicit-def: $vgpr20_vgpr21
.LBB9_57:                               ;   in Loop: Header=BB9_54 Depth=4
	s_or_saveexec_b32 s3, s47
	v_cvt_f32_u32_e32 v7, s20
	s_xor_b32 exec_lo, exec_lo, s3
	s_cbranch_execz .LBB9_59
; %bb.58:                               ;   in Loop: Header=BB9_54 Depth=4
	s_delay_alu instid0(VALU_DEP_1) | instskip(SKIP_2) | instid1(TRANS32_DEP_1)
	v_rcp_iflag_f32_e32 v1, v7
	s_sub_co_i32 s14, 0, s20
	v_nop
	v_mul_f32_e32 v1, 0x4f7ffffe, v1
	s_delay_alu instid0(VALU_DEP_1) | instskip(NEXT) | instid1(VALU_DEP_1)
	v_cvt_u32_f32_e32 v1, v1
	v_mul_lo_u32 v15, s14, v1
	s_delay_alu instid0(VALU_DEP_1) | instskip(NEXT) | instid1(VALU_DEP_1)
	v_mul_hi_u32 v15, v1, v15
	v_add_nc_u32_e32 v1, v1, v15
	s_delay_alu instid0(VALU_DEP_1) | instskip(NEXT) | instid1(VALU_DEP_1)
	v_mul_hi_u32 v1, v20, v1
	v_mul_lo_u32 v15, v1, s20
	s_delay_alu instid0(VALU_DEP_1) | instskip(NEXT) | instid1(VALU_DEP_1)
	v_sub_nc_u32_e32 v15, v20, v15
	v_subrev_nc_u32_e32 v19, s20, v15
	v_cmp_le_u32_e32 vcc_lo, s20, v15
	s_delay_alu instid0(VALU_DEP_2) | instskip(NEXT) | instid1(VALU_DEP_1)
	v_dual_cndmask_b32 v15, v15, v19 :: v_dual_add_nc_u32 v18, 1, v1
	v_cndmask_b32_e32 v1, v1, v18, vcc_lo
	s_delay_alu instid0(VALU_DEP_2) | instskip(NEXT) | instid1(VALU_DEP_2)
	v_cmp_le_u32_e32 vcc_lo, s20, v15
	v_add_nc_u32_e32 v18, 1, v1
	s_delay_alu instid0(VALU_DEP_1)
	v_cndmask_b32_e32 v18, v1, v18, vcc_lo
.LBB9_59:                               ;   in Loop: Header=BB9_54 Depth=4
	s_or_b32 exec_lo, exec_lo, s3
	v_or_b32_e32 v1, s21, v17
                                        ; implicit-def: $vgpr20_vgpr21
	s_mov_b32 s3, exec_lo
	s_delay_alu instid0(VALU_DEP_1)
	v_cmpx_ne_u64_e32 0, v[0:1]
	s_xor_b32 s47, exec_lo, s3
	s_cbranch_execz .LBB9_61
; %bb.60:                               ;   in Loop: Header=BB9_54 Depth=4
	s_ashr_i32 s40, s21, 31
	v_dual_mov_b32 v25, v0 :: v_dual_ashrrev_i32 v20, 31, v17
	s_mov_b32 s41, s40
	v_mov_b32_e32 v41, v0
	s_add_nc_u64 s[42:43], s[20:21], s[40:41]
	s_delay_alu instid0(VALU_DEP_2) | instskip(SKIP_1) | instid1(SALU_CYCLE_1)
	v_mov_b32_e32 v21, v20
	s_xor_b64 s[42:43], s[42:43], s[40:41]
	s_cvt_f32_u32 s3, s42
	s_cvt_f32_u32 s14, s43
	s_sub_nc_u64 s[56:57], 0, s[42:43]
	v_add_nc_u64_e32 v[22:23], v[16:17], v[20:21]
	v_mov_b32_e32 v29, v0
	s_fmamk_f32 s3, s14, 0x4f800000, s3
	s_delay_alu instid0(SALU_CYCLE_3) | instskip(NEXT) | instid1(VALU_DEP_2)
	v_s_rcp_f32 s3, s3
	v_xor_b32_e32 v24, v22, v20
	s_delay_alu instid0(VALU_DEP_3) | instskip(SKIP_1) | instid1(TRANS32_DEP_1)
	v_xor_b32_e32 v28, v23, v20
	v_xor_b32_e32 v20, s40, v20
	s_mul_f32 s3, s3, 0x5f7ffffc
	s_delay_alu instid0(SALU_CYCLE_3) | instskip(NEXT) | instid1(SALU_CYCLE_3)
	s_mul_f32 s14, s3, 0x2f800000
	s_trunc_f32 s14, s14
	s_delay_alu instid0(SALU_CYCLE_3) | instskip(SKIP_1) | instid1(SALU_CYCLE_2)
	s_fmamk_f32 s3, s14, 0xcf800000, s3
	s_cvt_u32_f32 s49, s14
	s_cvt_u32_f32 s48, s3
	s_delay_alu instid0(SALU_CYCLE_3) | instskip(NEXT) | instid1(SALU_CYCLE_1)
	s_mul_u64 s[58:59], s[56:57], s[48:49]
	s_mul_hi_u32 s61, s48, s59
	s_mul_i32 s60, s48, s59
	s_mul_hi_u32 s14, s48, s58
	s_mul_i32 s41, s49, s58
	s_add_nc_u64 s[60:61], s[14:15], s[60:61]
	s_mul_hi_u32 s3, s49, s58
	s_mul_hi_u32 s62, s49, s59
	s_add_co_u32 s14, s60, s41
	s_add_co_ci_u32 s14, s61, s3
	s_mul_i32 s58, s49, s59
	s_add_co_ci_u32 s59, s62, 0
	s_delay_alu instid0(SALU_CYCLE_1) | instskip(NEXT) | instid1(SALU_CYCLE_1)
	s_add_nc_u64 s[58:59], s[14:15], s[58:59]
	s_add_co_u32 s48, s48, s58
	s_cselect_b32 s3, -1, 0
	s_delay_alu instid0(SALU_CYCLE_1) | instskip(SKIP_1) | instid1(SALU_CYCLE_1)
	s_cmp_lg_u32 s3, 0
	s_add_co_ci_u32 s49, s49, s59
	s_mul_u64 s[56:57], s[56:57], s[48:49]
	s_delay_alu instid0(SALU_CYCLE_1)
	s_mul_hi_u32 s59, s48, s57
	s_mul_i32 s58, s48, s57
	s_mul_hi_u32 s14, s48, s56
	s_mul_i32 s41, s49, s56
	s_add_nc_u64 s[58:59], s[14:15], s[58:59]
	s_mul_hi_u32 s3, s49, s56
	s_mul_hi_u32 s60, s49, s57
	s_add_co_u32 s14, s58, s41
	s_add_co_ci_u32 s14, s59, s3
	s_mul_i32 s56, s49, s57
	s_add_co_ci_u32 s57, s60, 0
	s_delay_alu instid0(SALU_CYCLE_1) | instskip(NEXT) | instid1(SALU_CYCLE_1)
	s_add_nc_u64 s[56:57], s[14:15], s[56:57]
	s_add_co_u32 s48, s48, s56
	s_cselect_b32 s3, -1, 0
	v_mul_hi_u32 v40, v24, s48
	s_cmp_lg_u32 s3, 0
	s_add_co_ci_u32 s14, s49, s57
	s_and_b64 s[56:57], s[48:49], s[24:25]
	v_mul_u64_e32 v[26:27], s[14:15], v[24:25]
	v_mul_u64_e32 v[22:23], s[56:57], v[28:29]
	;; [unrolled: 1-line block ×3, first 2 shown]
	s_delay_alu instid0(VALU_DEP_3) | instskip(NEXT) | instid1(VALU_DEP_1)
	v_add_nc_u64_e32 v[26:27], v[40:41], v[26:27]
	v_add_co_u32 v1, vcc_lo, v26, v22
	s_delay_alu instid0(VALU_DEP_2) | instskip(NEXT) | instid1(VALU_DEP_4)
	v_add_co_ci_u32_e32 v40, vcc_lo, v27, v23, vcc_lo
	v_add_co_ci_u32_e32 v31, vcc_lo, 0, v31, vcc_lo
	s_delay_alu instid0(VALU_DEP_1) | instskip(NEXT) | instid1(VALU_DEP_1)
	v_add_nc_u64_e32 v[22:23], v[40:41], v[30:31]
	v_mul_u64_e32 v[26:27], s[42:43], v[22:23]
	s_delay_alu instid0(VALU_DEP_1) | instskip(NEXT) | instid1(VALU_DEP_2)
	v_sub_nc_u32_e32 v1, v28, v27
	v_sub_co_u32 v15, vcc_lo, v24, v26
	s_delay_alu instid0(VALU_DEP_1) | instskip(NEXT) | instid1(VALU_DEP_3)
	v_sub_co_ci_u32_e64 v21, null, v28, v27, vcc_lo
	v_subrev_co_ci_u32_e64 v1, null, s43, v1, vcc_lo
	s_delay_alu instid0(VALU_DEP_3) | instskip(SKIP_1) | instid1(VALU_DEP_3)
	v_sub_co_u32 v19, s3, v15, s42
	v_add_nc_u64_e32 v[26:27], 1, v[22:23]
	v_subrev_co_ci_u32_e64 v1, null, 0, v1, s3
	s_delay_alu instid0(VALU_DEP_3) | instskip(SKIP_1) | instid1(VALU_DEP_3)
	v_cmp_le_u32_e32 vcc_lo, s42, v19
	v_cndmask_b32_e64 v19, 0, -1, vcc_lo
	v_cmp_le_u32_e32 vcc_lo, s43, v1
	v_cndmask_b32_e64 v24, 0, -1, vcc_lo
	;; [unrolled: 2-line block ×4, first 2 shown]
	v_cmp_eq_u32_e32 vcc_lo, s43, v1
	v_cndmask_b32_e32 v1, v24, v19, vcc_lo
	v_cmp_eq_u32_e32 vcc_lo, s43, v21
	v_add_nc_u64_e32 v[24:25], 2, v[22:23]
	v_mov_b32_e32 v21, v20
	v_cndmask_b32_e32 v15, v28, v15, vcc_lo
	v_cmp_ne_u32_e32 vcc_lo, 0, v1
	s_delay_alu instid0(VALU_DEP_2) | instskip(SKIP_1) | instid1(VALU_DEP_1)
	v_cmp_ne_u32_e64 s3, 0, v15
	v_dual_cndmask_b32 v1, v27, v25, vcc_lo :: v_dual_cndmask_b32 v15, v26, v24, vcc_lo
	v_dual_cndmask_b32 v1, v23, v1, s3 :: v_dual_cndmask_b32 v15, v22, v15, s3
	s_delay_alu instid0(VALU_DEP_1) | instskip(NEXT) | instid1(VALU_DEP_2)
	v_xor_b32_e32 v23, v1, v20
	v_xor_b32_e32 v22, v15, v20
	s_delay_alu instid0(VALU_DEP_1)
	v_sub_nc_u64_e32 v[20:21], v[22:23], v[20:21]
.LBB9_61:                               ;   in Loop: Header=BB9_54 Depth=4
	s_and_not1_saveexec_b32 s3, s47
	s_cbranch_execz .LBB9_63
; %bb.62:                               ;   in Loop: Header=BB9_54 Depth=4
	v_rcp_iflag_f32_e32 v1, v7
	s_sub_co_i32 s14, 0, s20
	v_mov_b32_e32 v21, v0
	s_delay_alu instid0(TRANS32_DEP_1) | instskip(NEXT) | instid1(VALU_DEP_1)
	v_mul_f32_e32 v1, 0x4f7ffffe, v1
	v_cvt_u32_f32_e32 v1, v1
	s_delay_alu instid0(VALU_DEP_1) | instskip(NEXT) | instid1(VALU_DEP_1)
	v_mul_lo_u32 v15, s14, v1
	v_mul_hi_u32 v15, v1, v15
	s_delay_alu instid0(VALU_DEP_1) | instskip(NEXT) | instid1(VALU_DEP_1)
	v_add_nc_u32_e32 v1, v1, v15
	v_mul_hi_u32 v1, v16, v1
	s_delay_alu instid0(VALU_DEP_1) | instskip(NEXT) | instid1(VALU_DEP_1)
	v_mul_lo_u32 v15, v1, s20
	v_sub_nc_u32_e32 v15, v16, v15
	s_delay_alu instid0(VALU_DEP_1) | instskip(SKIP_1) | instid1(VALU_DEP_2)
	v_subrev_nc_u32_e32 v20, s20, v15
	v_cmp_le_u32_e32 vcc_lo, s20, v15
	v_dual_add_nc_u32 v19, 1, v1 :: v_dual_cndmask_b32 v15, v15, v20, vcc_lo
	s_delay_alu instid0(VALU_DEP_1) | instskip(NEXT) | instid1(VALU_DEP_2)
	v_cndmask_b32_e32 v1, v1, v19, vcc_lo
	v_cmp_le_u32_e32 vcc_lo, s20, v15
	s_delay_alu instid0(VALU_DEP_2) | instskip(NEXT) | instid1(VALU_DEP_1)
	v_add_nc_u32_e32 v19, 1, v1
	v_cndmask_b32_e32 v20, v1, v19, vcc_lo
.LBB9_63:                               ;   in Loop: Header=BB9_54 Depth=4
	s_or_b32 exec_lo, exec_lo, s3
	s_delay_alu instid0(VALU_DEP_1) | instskip(SKIP_1) | instid1(VALU_DEP_1)
	v_mul_u64_e32 v[22:23], s[20:21], v[20:21]
                                        ; implicit-def: $vgpr24_vgpr25
	s_mov_b32 s3, exec_lo
	v_sub_nc_u64_e32 v[22:23], v[16:17], v[22:23]
	s_delay_alu instid0(VALU_DEP_1) | instskip(NEXT) | instid1(VALU_DEP_1)
	v_mul_u64_e32 v[22:23], s[16:17], v[22:23]
	v_or_b32_e32 v1, s21, v23
	s_delay_alu instid0(VALU_DEP_1)
	v_cmpx_ne_u64_e32 0, v[0:1]
	s_xor_b32 s47, exec_lo, s3
	s_cbranch_execz .LBB9_65
; %bb.64:                               ;   in Loop: Header=BB9_54 Depth=4
	s_ashr_i32 s40, s21, 31
	v_dual_mov_b32 v27, v0 :: v_dual_ashrrev_i32 v24, 31, v23
	s_mov_b32 s41, s40
	s_delay_alu instid0(SALU_CYCLE_1) | instskip(NEXT) | instid1(VALU_DEP_1)
	s_add_nc_u64 s[42:43], s[20:21], s[40:41]
	v_mov_b32_e32 v25, v24
	s_xor_b64 s[42:43], s[42:43], s[40:41]
	s_delay_alu instid0(SALU_CYCLE_1)
	s_cvt_f32_u32 s3, s42
	s_cvt_f32_u32 s14, s43
	s_sub_nc_u64 s[56:57], 0, s[42:43]
	v_add_nc_u64_e32 v[22:23], v[22:23], v[24:25]
	v_mov_b32_e32 v31, v0
	s_fmamk_f32 s3, s14, 0x4f800000, s3
	s_delay_alu instid0(SALU_CYCLE_3) | instskip(NEXT) | instid1(VALU_DEP_2)
	v_s_rcp_f32 s3, s3
	v_xor_b32_e32 v26, v22, v24
	s_delay_alu instid0(VALU_DEP_3) | instskip(SKIP_1) | instid1(TRANS32_DEP_1)
	v_dual_mov_b32 v43, v0 :: v_dual_bitop2_b32 v30, v23, v24 bitop3:0x14
	v_xor_b32_e32 v24, s40, v24
	s_mul_f32 s3, s3, 0x5f7ffffc
	s_delay_alu instid0(VALU_DEP_1) | instskip(NEXT) | instid1(SALU_CYCLE_2)
	v_mov_b32_e32 v25, v24
	s_mul_f32 s14, s3, 0x2f800000
	s_delay_alu instid0(SALU_CYCLE_3) | instskip(NEXT) | instid1(SALU_CYCLE_3)
	s_trunc_f32 s14, s14
	s_fmamk_f32 s3, s14, 0xcf800000, s3
	s_cvt_u32_f32 s49, s14
	s_delay_alu instid0(SALU_CYCLE_2) | instskip(NEXT) | instid1(SALU_CYCLE_3)
	s_cvt_u32_f32 s48, s3
	s_mul_u64 s[58:59], s[56:57], s[48:49]
	s_delay_alu instid0(SALU_CYCLE_1)
	s_mul_hi_u32 s61, s48, s59
	s_mul_i32 s60, s48, s59
	s_mul_hi_u32 s14, s48, s58
	s_mul_i32 s41, s49, s58
	s_add_nc_u64 s[60:61], s[14:15], s[60:61]
	s_mul_hi_u32 s3, s49, s58
	s_mul_hi_u32 s62, s49, s59
	s_add_co_u32 s14, s60, s41
	s_add_co_ci_u32 s14, s61, s3
	s_mul_i32 s58, s49, s59
	s_add_co_ci_u32 s59, s62, 0
	s_delay_alu instid0(SALU_CYCLE_1) | instskip(NEXT) | instid1(SALU_CYCLE_1)
	s_add_nc_u64 s[58:59], s[14:15], s[58:59]
	s_add_co_u32 s48, s48, s58
	s_cselect_b32 s3, -1, 0
	s_delay_alu instid0(SALU_CYCLE_1) | instskip(SKIP_1) | instid1(SALU_CYCLE_1)
	s_cmp_lg_u32 s3, 0
	s_add_co_ci_u32 s49, s49, s59
	s_mul_u64 s[56:57], s[56:57], s[48:49]
	s_delay_alu instid0(SALU_CYCLE_1)
	s_mul_hi_u32 s59, s48, s57
	s_mul_i32 s58, s48, s57
	s_mul_hi_u32 s14, s48, s56
	s_mul_i32 s41, s49, s56
	s_add_nc_u64 s[58:59], s[14:15], s[58:59]
	s_mul_hi_u32 s3, s49, s56
	s_mul_hi_u32 s60, s49, s57
	s_add_co_u32 s14, s58, s41
	s_add_co_ci_u32 s14, s59, s3
	s_mul_i32 s56, s49, s57
	s_add_co_ci_u32 s57, s60, 0
	s_delay_alu instid0(SALU_CYCLE_1) | instskip(NEXT) | instid1(SALU_CYCLE_1)
	s_add_nc_u64 s[56:57], s[14:15], s[56:57]
	s_add_co_u32 s48, s48, s56
	s_cselect_b32 s3, -1, 0
	v_mul_hi_u32 v42, v26, s48
	s_cmp_lg_u32 s3, 0
	s_add_co_ci_u32 s14, s49, s57
	s_and_b64 s[56:57], s[48:49], s[24:25]
	v_mul_u64_e32 v[28:29], s[14:15], v[26:27]
	v_mul_u64_e32 v[22:23], s[56:57], v[30:31]
	;; [unrolled: 1-line block ×3, first 2 shown]
	s_delay_alu instid0(VALU_DEP_3) | instskip(NEXT) | instid1(VALU_DEP_1)
	v_add_nc_u64_e32 v[28:29], v[42:43], v[28:29]
	v_add_co_u32 v1, vcc_lo, v28, v22
	s_delay_alu instid0(VALU_DEP_2) | instskip(NEXT) | instid1(VALU_DEP_4)
	v_add_co_ci_u32_e32 v42, vcc_lo, v29, v23, vcc_lo
	v_add_co_ci_u32_e32 v41, vcc_lo, 0, v41, vcc_lo
	s_delay_alu instid0(VALU_DEP_1) | instskip(NEXT) | instid1(VALU_DEP_1)
	v_add_nc_u64_e32 v[22:23], v[42:43], v[40:41]
	v_mul_u64_e32 v[28:29], s[42:43], v[22:23]
	s_delay_alu instid0(VALU_DEP_1) | instskip(NEXT) | instid1(VALU_DEP_2)
	v_sub_nc_u32_e32 v1, v30, v29
	v_sub_co_u32 v7, vcc_lo, v26, v28
	s_delay_alu instid0(VALU_DEP_1) | instskip(NEXT) | instid1(VALU_DEP_3)
	v_sub_co_ci_u32_e64 v17, null, v30, v29, vcc_lo
	v_subrev_co_ci_u32_e64 v1, null, s43, v1, vcc_lo
	s_delay_alu instid0(VALU_DEP_3) | instskip(SKIP_1) | instid1(VALU_DEP_3)
	v_sub_co_u32 v15, s3, v7, s42
	v_add_nc_u64_e32 v[26:27], 2, v[22:23]
	v_subrev_co_ci_u32_e64 v1, null, 0, v1, s3
	s_delay_alu instid0(VALU_DEP_3) | instskip(SKIP_2) | instid1(VALU_DEP_4)
	v_cmp_le_u32_e32 vcc_lo, s42, v15
	v_add_nc_u64_e32 v[28:29], 1, v[22:23]
	v_cndmask_b32_e64 v15, 0, -1, vcc_lo
	v_cmp_le_u32_e32 vcc_lo, s43, v1
	v_cndmask_b32_e64 v19, 0, -1, vcc_lo
	v_cmp_le_u32_e32 vcc_lo, s42, v7
	;; [unrolled: 2-line block ×3, first 2 shown]
	v_cndmask_b32_e64 v21, 0, -1, vcc_lo
	v_cmp_eq_u32_e32 vcc_lo, s43, v1
	v_cndmask_b32_e32 v1, v19, v15, vcc_lo
	v_cmp_eq_u32_e32 vcc_lo, s43, v17
	s_delay_alu instid0(VALU_DEP_4) | instskip(NEXT) | instid1(VALU_DEP_3)
	v_cndmask_b32_e32 v7, v21, v7, vcc_lo
	v_cmp_ne_u32_e32 vcc_lo, 0, v1
	s_delay_alu instid0(VALU_DEP_2) | instskip(SKIP_1) | instid1(VALU_DEP_1)
	v_cmp_ne_u32_e64 s3, 0, v7
	v_dual_cndmask_b32 v1, v29, v27, vcc_lo :: v_dual_cndmask_b32 v7, v28, v26, vcc_lo
	v_dual_cndmask_b32 v1, v23, v1, s3 :: v_dual_cndmask_b32 v7, v22, v7, s3
	s_delay_alu instid0(VALU_DEP_1) | instskip(NEXT) | instid1(VALU_DEP_2)
	v_xor_b32_e32 v23, v1, v24
	v_xor_b32_e32 v22, v7, v24
                                        ; implicit-def: $vgpr7
	s_delay_alu instid0(VALU_DEP_1)
	v_sub_nc_u64_e32 v[24:25], v[22:23], v[24:25]
                                        ; implicit-def: $vgpr22_vgpr23
.LBB9_65:                               ;   in Loop: Header=BB9_54 Depth=4
	s_and_not1_saveexec_b32 s3, s47
	s_cbranch_execz .LBB9_67
; %bb.66:                               ;   in Loop: Header=BB9_54 Depth=4
	v_rcp_iflag_f32_e32 v1, v7
	s_sub_co_i32 s14, 0, s20
	v_nop
	s_delay_alu instid0(TRANS32_DEP_1) | instskip(NEXT) | instid1(VALU_DEP_1)
	v_mul_f32_e32 v1, 0x4f7ffffe, v1
	v_cvt_u32_f32_e32 v1, v1
	s_delay_alu instid0(VALU_DEP_1) | instskip(NEXT) | instid1(VALU_DEP_1)
	v_mul_lo_u32 v7, s14, v1
	v_mul_hi_u32 v7, v1, v7
	s_delay_alu instid0(VALU_DEP_1) | instskip(NEXT) | instid1(VALU_DEP_1)
	v_add_nc_u32_e32 v1, v1, v7
	v_mul_hi_u32 v1, v22, v1
	s_delay_alu instid0(VALU_DEP_1) | instskip(NEXT) | instid1(VALU_DEP_1)
	v_mul_lo_u32 v7, v1, s20
	v_dual_add_nc_u32 v15, 1, v1 :: v_dual_sub_nc_u32 v7, v22, v7
	s_delay_alu instid0(VALU_DEP_1) | instskip(SKIP_1) | instid1(VALU_DEP_2)
	v_subrev_nc_u32_e32 v17, s20, v7
	v_cmp_le_u32_e32 vcc_lo, s20, v7
	v_dual_cndmask_b32 v7, v7, v17, vcc_lo :: v_dual_cndmask_b32 v1, v1, v15, vcc_lo
	s_delay_alu instid0(VALU_DEP_1) | instskip(NEXT) | instid1(VALU_DEP_2)
	v_cmp_le_u32_e32 vcc_lo, s20, v7
	v_add_nc_u32_e32 v15, 1, v1
	s_delay_alu instid0(VALU_DEP_1)
	v_cndmask_b32_e32 v24, v1, v15, vcc_lo
.LBB9_67:                               ;   in Loop: Header=BB9_54 Depth=4
	s_or_b32 exec_lo, exec_lo, s3
	global_load_b32 v7, v[12:13], off
	v_mad_u32 v1, v20, s16, v24
	v_mov_b64_e32 v[20:21], v[10:11]
	v_mov_b64_e32 v[22:23], v[8:9]
	s_mov_b32 s47, 0
	s_delay_alu instid0(VALU_DEP_3) | instskip(NEXT) | instid1(VALU_DEP_1)
	v_dual_ashrrev_i32 v15, 31, v14 :: v_dual_sub_nc_u32 v1, v18, v1
	v_lshl_add_u64 v[18:19], v[14:15], 2, s[36:37]
	s_delay_alu instid0(VALU_DEP_2)
	v_mad_u32 v17, s44, v1, s44
	s_branch .LBB9_69
.LBB9_68:                               ;   in Loop: Header=BB9_69 Depth=5
	s_or_b32 exec_lo, exec_lo, s3
	global_load_b32 v1, v[18:19], off
	v_mad_u32 v15, v26, s18, v30
	v_add_nc_u64_e32 v[22:23], 1, v[22:23]
	s_wait_xcnt 0x0
	v_add_nc_u64_e32 v[18:19], 4, v[18:19]
	v_add_nc_u64_e32 v[20:21], s[18:19], v[20:21]
	s_delay_alu instid0(VALU_DEP_4) | instskip(NEXT) | instid1(VALU_DEP_1)
	v_sub_nc_u32_e32 v15, v24, v15
	v_mad_u32 v15, v17, v15, v17
	s_delay_alu instid0(VALU_DEP_1) | instskip(SKIP_1) | instid1(VALU_DEP_1)
	v_cvt_f32_i32_e32 v15, v15
	s_wait_loadcnt 0x0
	v_div_scale_f32 v24, null, v15, v15, v1
	s_delay_alu instid0(VALU_DEP_1) | instskip(SKIP_1) | instid1(TRANS32_DEP_1)
	v_rcp_f32_e32 v25, v24
	v_nop
	v_fma_f32 v26, -v24, v25, 1.0
	s_delay_alu instid0(VALU_DEP_1) | instskip(SKIP_1) | instid1(VALU_DEP_1)
	v_fmac_f32_e32 v25, v26, v25
	v_div_scale_f32 v26, vcc_lo, v1, v15, v1
	v_mul_f32_e32 v27, v26, v25
	s_delay_alu instid0(VALU_DEP_1) | instskip(NEXT) | instid1(VALU_DEP_1)
	v_fma_f32 v28, -v24, v27, v26
	v_fmac_f32_e32 v27, v28, v25
	s_delay_alu instid0(VALU_DEP_1) | instskip(NEXT) | instid1(VALU_DEP_1)
	v_fma_f32 v24, -v24, v27, v26
	v_div_fmas_f32 v24, v24, v25, v27
	v_cmp_ge_i32_e32 vcc_lo, v22, v38
	s_delay_alu instid0(VALU_DEP_2) | instskip(SKIP_1) | instid1(VALU_DEP_1)
	v_div_fixup_f32 v1, v24, v15, v1
	s_or_b32 s47, vcc_lo, s47
	v_add_f32_e32 v7, v7, v1
	global_store_b32 v[12:13], v7, off
	s_wait_xcnt 0x0
	s_and_not1_b32 exec_lo, exec_lo, s47
	s_cbranch_execz .LBB9_53
.LBB9_69:                               ;   Parent Loop BB9_12 Depth=1
                                        ;     Parent Loop BB9_27 Depth=2
                                        ;       Parent Loop BB9_42 Depth=3
                                        ;         Parent Loop BB9_54 Depth=4
                                        ; =>        This Inner Loop Header: Depth=5
	v_or_b32_e32 v1, s23, v21
                                        ; implicit-def: $vgpr24_vgpr25
	s_mov_b32 s3, exec_lo
	s_wait_xcnt 0x0
	s_delay_alu instid0(VALU_DEP_1)
	v_cmpx_ne_u64_e32 0, v[0:1]
	s_xor_b32 s48, exec_lo, s3
	s_cbranch_execz .LBB9_71
; %bb.70:                               ;   in Loop: Header=BB9_69 Depth=5
	s_ashr_i32 s40, s23, 31
	v_dual_mov_b32 v29, v0 :: v_dual_ashrrev_i32 v24, 31, v21
	s_mov_b32 s41, s40
	v_mov_b32_e32 v45, v0
	s_add_nc_u64 s[42:43], s[22:23], s[40:41]
	s_delay_alu instid0(VALU_DEP_2) | instskip(SKIP_1) | instid1(SALU_CYCLE_1)
	v_mov_b32_e32 v25, v24
	s_xor_b64 s[42:43], s[42:43], s[40:41]
	s_cvt_f32_u32 s3, s42
	s_cvt_f32_u32 s14, s43
	s_sub_nc_u64 s[58:59], 0, s[42:43]
	v_add_nc_u64_e32 v[26:27], v[20:21], v[24:25]
	v_mov_b32_e32 v41, v0
	s_fmamk_f32 s3, s14, 0x4f800000, s3
	s_delay_alu instid0(SALU_CYCLE_3) | instskip(NEXT) | instid1(VALU_DEP_2)
	v_s_rcp_f32 s3, s3
	v_xor_b32_e32 v28, v26, v24
	s_delay_alu instid0(VALU_DEP_3) | instskip(SKIP_1) | instid1(TRANS32_DEP_1)
	v_xor_b32_e32 v40, v27, v24
	v_xor_b32_e32 v24, s40, v24
	s_mul_f32 s3, s3, 0x5f7ffffc
	s_delay_alu instid0(SALU_CYCLE_3) | instskip(NEXT) | instid1(SALU_CYCLE_3)
	s_mul_f32 s14, s3, 0x2f800000
	s_trunc_f32 s14, s14
	s_delay_alu instid0(SALU_CYCLE_3) | instskip(SKIP_1) | instid1(SALU_CYCLE_2)
	s_fmamk_f32 s3, s14, 0xcf800000, s3
	s_cvt_u32_f32 s57, s14
	s_cvt_u32_f32 s56, s3
	s_delay_alu instid0(SALU_CYCLE_3) | instskip(NEXT) | instid1(SALU_CYCLE_1)
	s_mul_u64 s[60:61], s[58:59], s[56:57]
	s_mul_hi_u32 s63, s56, s61
	s_mul_i32 s62, s56, s61
	s_mul_hi_u32 s14, s56, s60
	s_mul_i32 s41, s57, s60
	s_add_nc_u64 s[62:63], s[14:15], s[62:63]
	s_mul_hi_u32 s3, s57, s60
	s_mul_hi_u32 s49, s57, s61
	s_add_co_u32 s14, s62, s41
	s_add_co_ci_u32 s14, s63, s3
	s_mul_i32 s60, s57, s61
	s_add_co_ci_u32 s61, s49, 0
	s_delay_alu instid0(SALU_CYCLE_1) | instskip(NEXT) | instid1(SALU_CYCLE_1)
	s_add_nc_u64 s[60:61], s[14:15], s[60:61]
	s_add_co_u32 s56, s56, s60
	s_cselect_b32 s3, -1, 0
	s_delay_alu instid0(SALU_CYCLE_1) | instskip(SKIP_1) | instid1(SALU_CYCLE_1)
	s_cmp_lg_u32 s3, 0
	s_add_co_ci_u32 s57, s57, s61
	s_mul_u64 s[58:59], s[58:59], s[56:57]
	s_delay_alu instid0(SALU_CYCLE_1)
	s_mul_hi_u32 s61, s56, s59
	s_mul_i32 s60, s56, s59
	s_mul_hi_u32 s14, s56, s58
	s_mul_i32 s41, s57, s58
	s_add_nc_u64 s[60:61], s[14:15], s[60:61]
	s_mul_hi_u32 s3, s57, s58
	s_mul_hi_u32 s49, s57, s59
	s_add_co_u32 s14, s60, s41
	s_add_co_ci_u32 s14, s61, s3
	s_mul_i32 s58, s57, s59
	s_add_co_ci_u32 s59, s49, 0
	s_delay_alu instid0(SALU_CYCLE_1) | instskip(NEXT) | instid1(SALU_CYCLE_1)
	s_add_nc_u64 s[58:59], s[14:15], s[58:59]
	s_add_co_u32 s56, s56, s58
	s_cselect_b32 s3, -1, 0
	v_mul_hi_u32 v44, v28, s56
	s_cmp_lg_u32 s3, 0
	s_add_co_ci_u32 s14, s57, s59
	s_and_b64 s[58:59], s[56:57], s[24:25]
	v_mul_u64_e32 v[30:31], s[14:15], v[28:29]
	v_mul_u64_e32 v[26:27], s[58:59], v[40:41]
	v_mul_u64_e32 v[42:43], s[14:15], v[40:41]
	s_delay_alu instid0(VALU_DEP_3) | instskip(NEXT) | instid1(VALU_DEP_1)
	v_add_nc_u64_e32 v[30:31], v[44:45], v[30:31]
	v_add_co_u32 v1, vcc_lo, v30, v26
	s_delay_alu instid0(VALU_DEP_2) | instskip(NEXT) | instid1(VALU_DEP_4)
	v_add_co_ci_u32_e32 v44, vcc_lo, v31, v27, vcc_lo
	v_add_co_ci_u32_e32 v43, vcc_lo, 0, v43, vcc_lo
	s_delay_alu instid0(VALU_DEP_1) | instskip(NEXT) | instid1(VALU_DEP_1)
	v_add_nc_u64_e32 v[26:27], v[44:45], v[42:43]
	v_mul_u64_e32 v[30:31], s[42:43], v[26:27]
	s_delay_alu instid0(VALU_DEP_1) | instskip(NEXT) | instid1(VALU_DEP_2)
	v_sub_nc_u32_e32 v1, v40, v31
	v_sub_co_u32 v15, vcc_lo, v28, v30
	s_delay_alu instid0(VALU_DEP_1) | instskip(NEXT) | instid1(VALU_DEP_3)
	v_sub_co_ci_u32_e64 v39, null, v40, v31, vcc_lo
	v_subrev_co_ci_u32_e64 v1, null, s43, v1, vcc_lo
	s_delay_alu instid0(VALU_DEP_3) | instskip(SKIP_1) | instid1(VALU_DEP_3)
	v_sub_co_u32 v25, s3, v15, s42
	v_add_nc_u64_e32 v[30:31], 1, v[26:27]
	v_subrev_co_ci_u32_e64 v1, null, 0, v1, s3
	s_delay_alu instid0(VALU_DEP_3) | instskip(SKIP_1) | instid1(VALU_DEP_3)
	v_cmp_le_u32_e32 vcc_lo, s42, v25
	v_cndmask_b32_e64 v25, 0, -1, vcc_lo
	v_cmp_le_u32_e32 vcc_lo, s43, v1
	v_cndmask_b32_e64 v28, 0, -1, vcc_lo
	;; [unrolled: 2-line block ×4, first 2 shown]
	v_cmp_eq_u32_e32 vcc_lo, s43, v1
	v_cndmask_b32_e32 v1, v28, v25, vcc_lo
	v_cmp_eq_u32_e32 vcc_lo, s43, v39
	v_add_nc_u64_e32 v[28:29], 2, v[26:27]
	v_mov_b32_e32 v25, v24
	v_cndmask_b32_e32 v15, v40, v15, vcc_lo
	v_cmp_ne_u32_e32 vcc_lo, 0, v1
	s_delay_alu instid0(VALU_DEP_2) | instskip(SKIP_1) | instid1(VALU_DEP_1)
	v_cmp_ne_u32_e64 s3, 0, v15
	v_dual_cndmask_b32 v1, v31, v29, vcc_lo :: v_dual_cndmask_b32 v15, v30, v28, vcc_lo
	v_dual_cndmask_b32 v1, v27, v1, s3 :: v_dual_cndmask_b32 v15, v26, v15, s3
	s_delay_alu instid0(VALU_DEP_1) | instskip(NEXT) | instid1(VALU_DEP_2)
	v_xor_b32_e32 v27, v1, v24
	v_xor_b32_e32 v26, v15, v24
	s_delay_alu instid0(VALU_DEP_1)
	v_sub_nc_u64_e32 v[24:25], v[26:27], v[24:25]
.LBB9_71:                               ;   in Loop: Header=BB9_69 Depth=5
	s_or_saveexec_b32 s3, s48
	v_cvt_f32_u32_e32 v15, s22
	s_xor_b32 exec_lo, exec_lo, s3
	s_cbranch_execz .LBB9_73
; %bb.72:                               ;   in Loop: Header=BB9_69 Depth=5
	s_delay_alu instid0(VALU_DEP_1) | instskip(SKIP_2) | instid1(TRANS32_DEP_1)
	v_rcp_iflag_f32_e32 v1, v15
	s_sub_co_i32 s14, 0, s22
	v_nop
	v_mul_f32_e32 v1, 0x4f7ffffe, v1
	s_delay_alu instid0(VALU_DEP_1) | instskip(NEXT) | instid1(VALU_DEP_1)
	v_cvt_u32_f32_e32 v1, v1
	v_mul_lo_u32 v24, s14, v1
	s_delay_alu instid0(VALU_DEP_1) | instskip(NEXT) | instid1(VALU_DEP_1)
	v_mul_hi_u32 v24, v1, v24
	v_add_nc_u32_e32 v1, v1, v24
	s_delay_alu instid0(VALU_DEP_1) | instskip(NEXT) | instid1(VALU_DEP_1)
	v_mul_hi_u32 v1, v20, v1
	v_mul_lo_u32 v24, v1, s22
	s_delay_alu instid0(VALU_DEP_1) | instskip(NEXT) | instid1(VALU_DEP_1)
	v_dual_add_nc_u32 v25, 1, v1 :: v_dual_sub_nc_u32 v24, v20, v24
	v_subrev_nc_u32_e32 v26, s22, v24
	v_cmp_le_u32_e32 vcc_lo, s22, v24
	s_delay_alu instid0(VALU_DEP_2) | instskip(NEXT) | instid1(VALU_DEP_1)
	v_dual_cndmask_b32 v24, v24, v26 :: v_dual_cndmask_b32 v1, v1, v25
	v_cmp_le_u32_e32 vcc_lo, s22, v24
	s_delay_alu instid0(VALU_DEP_2) | instskip(NEXT) | instid1(VALU_DEP_1)
	v_add_nc_u32_e32 v25, 1, v1
	v_cndmask_b32_e32 v24, v1, v25, vcc_lo
.LBB9_73:                               ;   in Loop: Header=BB9_69 Depth=5
	s_or_b32 exec_lo, exec_lo, s3
	v_or_b32_e32 v1, s23, v23
                                        ; implicit-def: $vgpr26_vgpr27
	s_mov_b32 s3, exec_lo
	s_delay_alu instid0(VALU_DEP_1)
	v_cmpx_ne_u64_e32 0, v[0:1]
	s_xor_b32 s48, exec_lo, s3
	s_cbranch_execz .LBB9_75
; %bb.74:                               ;   in Loop: Header=BB9_69 Depth=5
	s_ashr_i32 s40, s23, 31
	v_dual_mov_b32 v31, v0 :: v_dual_ashrrev_i32 v26, 31, v23
	s_mov_b32 s41, s40
	s_delay_alu instid0(SALU_CYCLE_1) | instskip(NEXT) | instid1(VALU_DEP_1)
	s_add_nc_u64 s[42:43], s[22:23], s[40:41]
	v_mov_b32_e32 v27, v26
	s_xor_b64 s[42:43], s[42:43], s[40:41]
	s_delay_alu instid0(SALU_CYCLE_1)
	s_cvt_f32_u32 s3, s42
	s_cvt_f32_u32 s14, s43
	s_sub_nc_u64 s[58:59], 0, s[42:43]
	v_add_nc_u64_e32 v[28:29], v[22:23], v[26:27]
	v_mov_b32_e32 v43, v0
	s_fmamk_f32 s3, s14, 0x4f800000, s3
	s_delay_alu instid0(SALU_CYCLE_3) | instskip(NEXT) | instid1(VALU_DEP_2)
	v_s_rcp_f32 s3, s3
	v_xor_b32_e32 v30, v28, v26
	s_delay_alu instid0(VALU_DEP_3) | instskip(NEXT) | instid1(TRANS32_DEP_1)
	v_dual_mov_b32 v47, v0 :: v_dual_bitop2_b32 v42, v29, v26 bitop3:0x14
	s_mul_f32 s3, s3, 0x5f7ffffc
	s_delay_alu instid0(SALU_CYCLE_3) | instskip(NEXT) | instid1(SALU_CYCLE_3)
	s_mul_f32 s14, s3, 0x2f800000
	s_trunc_f32 s14, s14
	s_delay_alu instid0(SALU_CYCLE_3) | instskip(SKIP_1) | instid1(SALU_CYCLE_2)
	s_fmamk_f32 s3, s14, 0xcf800000, s3
	s_cvt_u32_f32 s57, s14
	s_cvt_u32_f32 s56, s3
	s_delay_alu instid0(SALU_CYCLE_3) | instskip(NEXT) | instid1(SALU_CYCLE_1)
	s_mul_u64 s[60:61], s[58:59], s[56:57]
	s_mul_hi_u32 s63, s56, s61
	s_mul_i32 s62, s56, s61
	s_mul_hi_u32 s14, s56, s60
	s_mul_i32 s41, s57, s60
	s_add_nc_u64 s[62:63], s[14:15], s[62:63]
	s_mul_hi_u32 s3, s57, s60
	s_mul_hi_u32 s49, s57, s61
	s_add_co_u32 s14, s62, s41
	s_add_co_ci_u32 s14, s63, s3
	s_mul_i32 s60, s57, s61
	s_add_co_ci_u32 s61, s49, 0
	s_delay_alu instid0(SALU_CYCLE_1) | instskip(NEXT) | instid1(SALU_CYCLE_1)
	s_add_nc_u64 s[60:61], s[14:15], s[60:61]
	s_add_co_u32 s56, s56, s60
	s_cselect_b32 s3, -1, 0
	s_delay_alu instid0(SALU_CYCLE_1) | instskip(SKIP_1) | instid1(SALU_CYCLE_1)
	s_cmp_lg_u32 s3, 0
	s_add_co_ci_u32 s57, s57, s61
	s_mul_u64 s[58:59], s[58:59], s[56:57]
	s_delay_alu instid0(SALU_CYCLE_1)
	s_mul_hi_u32 s61, s56, s59
	s_mul_i32 s60, s56, s59
	s_mul_hi_u32 s14, s56, s58
	s_mul_i32 s41, s57, s58
	s_add_nc_u64 s[60:61], s[14:15], s[60:61]
	s_mul_hi_u32 s3, s57, s58
	s_mul_hi_u32 s49, s57, s59
	s_add_co_u32 s14, s60, s41
	s_add_co_ci_u32 s14, s61, s3
	s_mul_i32 s58, s57, s59
	s_add_co_ci_u32 s59, s49, 0
	s_delay_alu instid0(SALU_CYCLE_1) | instskip(NEXT) | instid1(SALU_CYCLE_1)
	s_add_nc_u64 s[58:59], s[14:15], s[58:59]
	s_add_co_u32 s56, s56, s58
	s_cselect_b32 s3, -1, 0
	v_mul_hi_u32 v46, v30, s56
	s_cmp_lg_u32 s3, 0
	s_add_co_ci_u32 s14, s57, s59
	s_and_b64 s[58:59], s[56:57], s[24:25]
	v_mul_u64_e32 v[40:41], s[14:15], v[30:31]
	v_mul_u64_e32 v[28:29], s[58:59], v[42:43]
	;; [unrolled: 1-line block ×3, first 2 shown]
	s_delay_alu instid0(VALU_DEP_3) | instskip(NEXT) | instid1(VALU_DEP_1)
	v_add_nc_u64_e32 v[40:41], v[46:47], v[40:41]
	v_add_co_u32 v1, vcc_lo, v40, v28
	s_delay_alu instid0(VALU_DEP_2) | instskip(NEXT) | instid1(VALU_DEP_4)
	v_add_co_ci_u32_e32 v46, vcc_lo, v41, v29, vcc_lo
	v_add_co_ci_u32_e32 v45, vcc_lo, 0, v45, vcc_lo
	s_delay_alu instid0(VALU_DEP_1) | instskip(NEXT) | instid1(VALU_DEP_1)
	v_add_nc_u64_e32 v[28:29], v[46:47], v[44:45]
	v_mul_u64_e32 v[40:41], s[42:43], v[28:29]
	s_delay_alu instid0(VALU_DEP_1) | instskip(NEXT) | instid1(VALU_DEP_2)
	v_sub_nc_u32_e32 v1, v42, v41
	v_sub_co_u32 v25, vcc_lo, v30, v40
	s_delay_alu instid0(VALU_DEP_1) | instskip(NEXT) | instid1(VALU_DEP_3)
	v_sub_co_ci_u32_e64 v39, null, v42, v41, vcc_lo
	v_subrev_co_ci_u32_e64 v1, null, s43, v1, vcc_lo
	s_delay_alu instid0(VALU_DEP_3) | instskip(SKIP_1) | instid1(VALU_DEP_3)
	v_sub_co_u32 v27, s3, v25, s42
	v_add_nc_u64_e32 v[40:41], 1, v[28:29]
	v_subrev_co_ci_u32_e64 v1, null, 0, v1, s3
	s_delay_alu instid0(VALU_DEP_3) | instskip(SKIP_1) | instid1(VALU_DEP_3)
	v_cmp_le_u32_e32 vcc_lo, s42, v27
	v_cndmask_b32_e64 v27, 0, -1, vcc_lo
	v_cmp_le_u32_e32 vcc_lo, s43, v1
	v_cndmask_b32_e64 v30, 0, -1, vcc_lo
	;; [unrolled: 2-line block ×4, first 2 shown]
	v_cmp_eq_u32_e32 vcc_lo, s43, v1
	v_cndmask_b32_e32 v1, v30, v27, vcc_lo
	v_cmp_eq_u32_e32 vcc_lo, s43, v39
	v_add_nc_u64_e32 v[30:31], 2, v[28:29]
	v_cndmask_b32_e32 v25, v42, v25, vcc_lo
	s_delay_alu instid0(VALU_DEP_4) | instskip(NEXT) | instid1(VALU_DEP_3)
	v_cmp_ne_u32_e32 vcc_lo, 0, v1
	v_cndmask_b32_e32 v1, v41, v31, vcc_lo
	s_delay_alu instid0(VALU_DEP_3) | instskip(SKIP_1) | instid1(VALU_DEP_2)
	v_cmp_ne_u32_e64 s3, 0, v25
	v_cndmask_b32_e32 v25, v40, v30, vcc_lo
	v_dual_cndmask_b32 v1, v29, v1, s3 :: v_dual_bitop2_b32 v26, s40, v26 bitop3:0x14
	s_delay_alu instid0(VALU_DEP_1) | instskip(NEXT) | instid1(VALU_DEP_2)
	v_dual_cndmask_b32 v25, v28, v25, s3 :: v_dual_mov_b32 v27, v26
	v_xor_b32_e32 v29, v1, v26
	s_delay_alu instid0(VALU_DEP_2) | instskip(NEXT) | instid1(VALU_DEP_1)
	v_xor_b32_e32 v28, v25, v26
	v_sub_nc_u64_e32 v[26:27], v[28:29], v[26:27]
.LBB9_75:                               ;   in Loop: Header=BB9_69 Depth=5
	s_and_not1_saveexec_b32 s3, s48
	s_cbranch_execz .LBB9_77
; %bb.76:                               ;   in Loop: Header=BB9_69 Depth=5
	v_rcp_iflag_f32_e32 v1, v15
	s_sub_co_i32 s14, 0, s22
	v_nop
	s_delay_alu instid0(TRANS32_DEP_1) | instskip(NEXT) | instid1(VALU_DEP_1)
	v_mul_f32_e32 v1, 0x4f7ffffe, v1
	v_cvt_u32_f32_e32 v1, v1
	s_delay_alu instid0(VALU_DEP_1) | instskip(NEXT) | instid1(VALU_DEP_1)
	v_mul_lo_u32 v25, s14, v1
	v_mul_hi_u32 v25, v1, v25
	s_delay_alu instid0(VALU_DEP_1) | instskip(NEXT) | instid1(VALU_DEP_1)
	v_add_nc_u32_e32 v1, v1, v25
	v_mul_hi_u32 v1, v22, v1
	s_delay_alu instid0(VALU_DEP_1) | instskip(NEXT) | instid1(VALU_DEP_1)
	v_mul_lo_u32 v25, v1, s22
	v_sub_nc_u32_e32 v25, v22, v25
	s_delay_alu instid0(VALU_DEP_1) | instskip(SKIP_1) | instid1(VALU_DEP_2)
	v_subrev_nc_u32_e32 v27, s22, v25
	v_cmp_le_u32_e32 vcc_lo, s22, v25
	v_dual_cndmask_b32 v25, v25, v27 :: v_dual_add_nc_u32 v26, 1, v1
	s_delay_alu instid0(VALU_DEP_1) | instskip(NEXT) | instid1(VALU_DEP_2)
	v_dual_cndmask_b32 v1, v1, v26, vcc_lo :: v_dual_mov_b32 v27, v0
	v_cmp_le_u32_e32 vcc_lo, s22, v25
	s_delay_alu instid0(VALU_DEP_2) | instskip(NEXT) | instid1(VALU_DEP_1)
	v_add_nc_u32_e32 v26, 1, v1
	v_cndmask_b32_e32 v26, v1, v26, vcc_lo
.LBB9_77:                               ;   in Loop: Header=BB9_69 Depth=5
	s_or_b32 exec_lo, exec_lo, s3
	s_delay_alu instid0(VALU_DEP_1) | instskip(SKIP_1) | instid1(VALU_DEP_1)
	v_mul_u64_e32 v[28:29], s[22:23], v[26:27]
                                        ; implicit-def: $vgpr30_vgpr31
	s_mov_b32 s3, exec_lo
	v_sub_nc_u64_e32 v[28:29], v[22:23], v[28:29]
	s_delay_alu instid0(VALU_DEP_1) | instskip(NEXT) | instid1(VALU_DEP_1)
	v_mul_u64_e32 v[28:29], s[18:19], v[28:29]
	v_or_b32_e32 v1, s23, v29
	s_delay_alu instid0(VALU_DEP_1)
	v_cmpx_ne_u64_e32 0, v[0:1]
	s_xor_b32 s48, exec_lo, s3
	s_cbranch_execz .LBB9_79
; %bb.78:                               ;   in Loop: Header=BB9_69 Depth=5
	s_ashr_i32 s40, s23, 31
	v_dual_mov_b32 v41, v0 :: v_dual_ashrrev_i32 v30, 31, v29
	s_mov_b32 s41, s40
	v_mov_b32_e32 v49, v0
	s_add_nc_u64 s[42:43], s[22:23], s[40:41]
	s_delay_alu instid0(VALU_DEP_2) | instskip(SKIP_1) | instid1(SALU_CYCLE_1)
	v_mov_b32_e32 v31, v30
	s_xor_b64 s[42:43], s[42:43], s[40:41]
	s_cvt_f32_u32 s3, s42
	s_cvt_f32_u32 s14, s43
	s_sub_nc_u64 s[58:59], 0, s[42:43]
	v_add_nc_u64_e32 v[28:29], v[28:29], v[30:31]
	v_mov_b32_e32 v45, v0
	s_fmamk_f32 s3, s14, 0x4f800000, s3
	s_delay_alu instid0(SALU_CYCLE_3) | instskip(NEXT) | instid1(VALU_DEP_2)
	v_s_rcp_f32 s3, s3
	v_xor_b32_e32 v40, v28, v30
	s_delay_alu instid0(VALU_DEP_3) | instskip(SKIP_1) | instid1(TRANS32_DEP_1)
	v_xor_b32_e32 v44, v29, v30
	v_xor_b32_e32 v30, s40, v30
	s_mul_f32 s3, s3, 0x5f7ffffc
	s_delay_alu instid0(SALU_CYCLE_3) | instskip(NEXT) | instid1(SALU_CYCLE_3)
	s_mul_f32 s14, s3, 0x2f800000
	s_trunc_f32 s14, s14
	s_delay_alu instid0(SALU_CYCLE_3) | instskip(SKIP_1) | instid1(SALU_CYCLE_2)
	s_fmamk_f32 s3, s14, 0xcf800000, s3
	s_cvt_u32_f32 s57, s14
	s_cvt_u32_f32 s56, s3
	s_delay_alu instid0(SALU_CYCLE_3) | instskip(NEXT) | instid1(SALU_CYCLE_1)
	s_mul_u64 s[60:61], s[58:59], s[56:57]
	s_mul_hi_u32 s63, s56, s61
	s_mul_i32 s62, s56, s61
	s_mul_hi_u32 s14, s56, s60
	s_mul_i32 s41, s57, s60
	s_add_nc_u64 s[62:63], s[14:15], s[62:63]
	s_mul_hi_u32 s3, s57, s60
	s_mul_hi_u32 s49, s57, s61
	s_add_co_u32 s14, s62, s41
	s_add_co_ci_u32 s14, s63, s3
	s_mul_i32 s60, s57, s61
	s_add_co_ci_u32 s61, s49, 0
	s_delay_alu instid0(SALU_CYCLE_1) | instskip(NEXT) | instid1(SALU_CYCLE_1)
	s_add_nc_u64 s[60:61], s[14:15], s[60:61]
	s_add_co_u32 s56, s56, s60
	s_cselect_b32 s3, -1, 0
	s_delay_alu instid0(SALU_CYCLE_1) | instskip(SKIP_1) | instid1(SALU_CYCLE_1)
	s_cmp_lg_u32 s3, 0
	s_add_co_ci_u32 s57, s57, s61
	s_mul_u64 s[58:59], s[58:59], s[56:57]
	s_delay_alu instid0(SALU_CYCLE_1)
	s_mul_hi_u32 s61, s56, s59
	s_mul_i32 s60, s56, s59
	s_mul_hi_u32 s14, s56, s58
	s_mul_i32 s41, s57, s58
	s_add_nc_u64 s[60:61], s[14:15], s[60:61]
	s_mul_hi_u32 s3, s57, s58
	s_mul_hi_u32 s49, s57, s59
	s_add_co_u32 s14, s60, s41
	s_add_co_ci_u32 s14, s61, s3
	s_mul_i32 s58, s57, s59
	s_add_co_ci_u32 s59, s49, 0
	s_delay_alu instid0(SALU_CYCLE_1) | instskip(NEXT) | instid1(SALU_CYCLE_1)
	s_add_nc_u64 s[58:59], s[14:15], s[58:59]
	s_add_co_u32 s56, s56, s58
	s_cselect_b32 s3, -1, 0
	v_mul_hi_u32 v48, v40, s56
	s_cmp_lg_u32 s3, 0
	s_add_co_ci_u32 s14, s57, s59
	s_and_b64 s[58:59], s[56:57], s[24:25]
	v_mul_u64_e32 v[42:43], s[14:15], v[40:41]
	v_mul_u64_e32 v[28:29], s[58:59], v[44:45]
	;; [unrolled: 1-line block ×3, first 2 shown]
	s_delay_alu instid0(VALU_DEP_3) | instskip(NEXT) | instid1(VALU_DEP_1)
	v_add_nc_u64_e32 v[42:43], v[48:49], v[42:43]
	v_add_co_u32 v1, vcc_lo, v42, v28
	s_delay_alu instid0(VALU_DEP_2) | instskip(NEXT) | instid1(VALU_DEP_4)
	v_add_co_ci_u32_e32 v48, vcc_lo, v43, v29, vcc_lo
	v_add_co_ci_u32_e32 v47, vcc_lo, 0, v47, vcc_lo
	s_delay_alu instid0(VALU_DEP_1) | instskip(NEXT) | instid1(VALU_DEP_1)
	v_add_nc_u64_e32 v[28:29], v[48:49], v[46:47]
	v_mul_u64_e32 v[42:43], s[42:43], v[28:29]
	s_delay_alu instid0(VALU_DEP_1) | instskip(SKIP_1) | instid1(VALU_DEP_3)
	v_sub_co_u32 v15, vcc_lo, v40, v42
	v_add_nc_u64_e32 v[40:41], 2, v[28:29]
	v_sub_nc_u32_e32 v1, v44, v43
	v_sub_co_ci_u32_e64 v27, null, v44, v43, vcc_lo
	s_delay_alu instid0(VALU_DEP_4) | instskip(NEXT) | instid1(VALU_DEP_3)
	v_sub_co_u32 v25, s3, v15, s42
	v_subrev_co_ci_u32_e64 v1, null, s43, v1, vcc_lo
	v_add_nc_u64_e32 v[42:43], 1, v[28:29]
	s_delay_alu instid0(VALU_DEP_3) | instskip(NEXT) | instid1(VALU_DEP_3)
	v_cmp_le_u32_e32 vcc_lo, s42, v25
	v_subrev_co_ci_u32_e64 v1, null, 0, v1, s3
	v_cndmask_b32_e64 v25, 0, -1, vcc_lo
	s_delay_alu instid0(VALU_DEP_2)
	v_cmp_le_u32_e32 vcc_lo, s43, v1
	v_cndmask_b32_e64 v31, 0, -1, vcc_lo
	v_cmp_le_u32_e32 vcc_lo, s42, v15
	v_cndmask_b32_e64 v15, 0, -1, vcc_lo
	;; [unrolled: 2-line block ×3, first 2 shown]
	v_cmp_eq_u32_e32 vcc_lo, s43, v1
	v_cndmask_b32_e32 v1, v31, v25, vcc_lo
	v_cmp_eq_u32_e32 vcc_lo, s43, v27
	s_delay_alu instid0(VALU_DEP_4) | instskip(NEXT) | instid1(VALU_DEP_3)
	v_dual_mov_b32 v31, v30 :: v_dual_cndmask_b32 v15, v39, v15, vcc_lo
	v_cmp_ne_u32_e32 vcc_lo, 0, v1
	s_delay_alu instid0(VALU_DEP_2) | instskip(SKIP_1) | instid1(VALU_DEP_1)
	v_cmp_ne_u32_e64 s3, 0, v15
	v_dual_cndmask_b32 v15, v42, v40, vcc_lo :: v_dual_cndmask_b32 v1, v43, v41, vcc_lo
	v_dual_cndmask_b32 v15, v28, v15, s3 :: v_dual_cndmask_b32 v1, v29, v1, s3
	s_delay_alu instid0(VALU_DEP_1) | instskip(NEXT) | instid1(VALU_DEP_2)
	v_xor_b32_e32 v28, v15, v30
	v_xor_b32_e32 v29, v1, v30
                                        ; implicit-def: $vgpr15
	s_delay_alu instid0(VALU_DEP_1)
	v_sub_nc_u64_e32 v[30:31], v[28:29], v[30:31]
                                        ; implicit-def: $vgpr28_vgpr29
.LBB9_79:                               ;   in Loop: Header=BB9_69 Depth=5
	s_and_not1_saveexec_b32 s3, s48
	s_cbranch_execz .LBB9_68
; %bb.80:                               ;   in Loop: Header=BB9_69 Depth=5
	v_rcp_iflag_f32_e32 v1, v15
	s_sub_co_i32 s14, 0, s22
	v_nop
	s_delay_alu instid0(TRANS32_DEP_1) | instskip(NEXT) | instid1(VALU_DEP_1)
	v_mul_f32_e32 v1, 0x4f7ffffe, v1
	v_cvt_u32_f32_e32 v1, v1
	s_delay_alu instid0(VALU_DEP_1) | instskip(NEXT) | instid1(VALU_DEP_1)
	v_mul_lo_u32 v15, s14, v1
	v_mul_hi_u32 v15, v1, v15
	s_delay_alu instid0(VALU_DEP_1) | instskip(NEXT) | instid1(VALU_DEP_1)
	v_add_nc_u32_e32 v1, v1, v15
	v_mul_hi_u32 v1, v28, v1
	s_delay_alu instid0(VALU_DEP_1) | instskip(NEXT) | instid1(VALU_DEP_1)
	v_mul_lo_u32 v15, v1, s22
	v_sub_nc_u32_e32 v15, v28, v15
	s_delay_alu instid0(VALU_DEP_1) | instskip(SKIP_1) | instid1(VALU_DEP_2)
	v_subrev_nc_u32_e32 v27, s22, v15
	v_cmp_le_u32_e32 vcc_lo, s22, v15
	v_dual_add_nc_u32 v25, 1, v1 :: v_dual_cndmask_b32 v15, v15, v27, vcc_lo
	s_delay_alu instid0(VALU_DEP_1) | instskip(NEXT) | instid1(VALU_DEP_2)
	v_cndmask_b32_e32 v1, v1, v25, vcc_lo
	v_cmp_le_u32_e32 vcc_lo, s22, v15
	s_delay_alu instid0(VALU_DEP_2) | instskip(NEXT) | instid1(VALU_DEP_1)
	v_add_nc_u32_e32 v25, 1, v1
	v_cndmask_b32_e32 v30, v1, v25, vcc_lo
	s_branch .LBB9_68
.LBB9_81:                               ;   in Loop: Header=BB9_42 Depth=3
                                        ; implicit-def: $sgpr40_sgpr41
	v_cvt_f32_u32_e32 v1, s12
	s_delay_alu instid0(VALU_DEP_1)
	v_rcp_iflag_f32_e32 v1, v1
	s_branch .LBB9_44
.LBB9_82:                               ;   in Loop: Header=BB9_42 Depth=3
                                        ; implicit-def: $sgpr42_sgpr43
	s_branch .LBB9_47
.LBB9_83:                               ;   in Loop: Header=BB9_42 Depth=3
                                        ; implicit-def: $sgpr46_sgpr47
	s_branch .LBB9_50
.LBB9_84:
	s_endpgm
.LBB9_85:
                                        ; implicit-def: $sgpr14_sgpr15
	v_cvt_f32_u32_e32 v1, s10
	s_branch .LBB9_2
.LBB9_86:
                                        ; implicit-def: $sgpr20_sgpr21
	s_branch .LBB9_5
.LBB9_87:
                                        ; implicit-def: $sgpr24_sgpr25
	s_load_b32 s21, s[0:1], 0x3c
	s_branch .LBB9_8
	.section	.rodata,"a",@progbits
	.p2align	6, 0x0
	.amdhsa_kernel _ZN2at6native12_GLOBAL__N_124adaptiveaveragegradinputIffEEvPT_PKS3_iiiiiil
		.amdhsa_group_segment_fixed_size 0
		.amdhsa_private_segment_fixed_size 0
		.amdhsa_kernarg_size 304
		.amdhsa_user_sgpr_count 2
		.amdhsa_user_sgpr_dispatch_ptr 0
		.amdhsa_user_sgpr_queue_ptr 0
		.amdhsa_user_sgpr_kernarg_segment_ptr 1
		.amdhsa_user_sgpr_dispatch_id 0
		.amdhsa_user_sgpr_kernarg_preload_length 0
		.amdhsa_user_sgpr_kernarg_preload_offset 0
		.amdhsa_user_sgpr_private_segment_size 0
		.amdhsa_wavefront_size32 1
		.amdhsa_uses_dynamic_stack 0
		.amdhsa_enable_private_segment 0
		.amdhsa_system_sgpr_workgroup_id_x 1
		.amdhsa_system_sgpr_workgroup_id_y 1
		.amdhsa_system_sgpr_workgroup_id_z 0
		.amdhsa_system_sgpr_workgroup_info 0
		.amdhsa_system_vgpr_workitem_id 1
		.amdhsa_next_free_vgpr 50
		.amdhsa_next_free_sgpr 68
		.amdhsa_named_barrier_count 0
		.amdhsa_reserve_vcc 1
		.amdhsa_float_round_mode_32 0
		.amdhsa_float_round_mode_16_64 0
		.amdhsa_float_denorm_mode_32 3
		.amdhsa_float_denorm_mode_16_64 3
		.amdhsa_fp16_overflow 0
		.amdhsa_memory_ordered 1
		.amdhsa_forward_progress 1
		.amdhsa_inst_pref_size 107
		.amdhsa_round_robin_scheduling 0
		.amdhsa_exception_fp_ieee_invalid_op 0
		.amdhsa_exception_fp_denorm_src 0
		.amdhsa_exception_fp_ieee_div_zero 0
		.amdhsa_exception_fp_ieee_overflow 0
		.amdhsa_exception_fp_ieee_underflow 0
		.amdhsa_exception_fp_ieee_inexact 0
		.amdhsa_exception_int_div_zero 0
	.end_amdhsa_kernel
	.section	.text._ZN2at6native12_GLOBAL__N_124adaptiveaveragegradinputIffEEvPT_PKS3_iiiiiil,"axG",@progbits,_ZN2at6native12_GLOBAL__N_124adaptiveaveragegradinputIffEEvPT_PKS3_iiiiiil,comdat
.Lfunc_end9:
	.size	_ZN2at6native12_GLOBAL__N_124adaptiveaveragegradinputIffEEvPT_PKS3_iiiiiil, .Lfunc_end9-_ZN2at6native12_GLOBAL__N_124adaptiveaveragegradinputIffEEvPT_PKS3_iiiiiil
                                        ; -- End function
	.set _ZN2at6native12_GLOBAL__N_124adaptiveaveragegradinputIffEEvPT_PKS3_iiiiiil.num_vgpr, 50
	.set _ZN2at6native12_GLOBAL__N_124adaptiveaveragegradinputIffEEvPT_PKS3_iiiiiil.num_agpr, 0
	.set _ZN2at6native12_GLOBAL__N_124adaptiveaveragegradinputIffEEvPT_PKS3_iiiiiil.numbered_sgpr, 68
	.set _ZN2at6native12_GLOBAL__N_124adaptiveaveragegradinputIffEEvPT_PKS3_iiiiiil.num_named_barrier, 0
	.set _ZN2at6native12_GLOBAL__N_124adaptiveaveragegradinputIffEEvPT_PKS3_iiiiiil.private_seg_size, 0
	.set _ZN2at6native12_GLOBAL__N_124adaptiveaveragegradinputIffEEvPT_PKS3_iiiiiil.uses_vcc, 1
	.set _ZN2at6native12_GLOBAL__N_124adaptiveaveragegradinputIffEEvPT_PKS3_iiiiiil.uses_flat_scratch, 0
	.set _ZN2at6native12_GLOBAL__N_124adaptiveaveragegradinputIffEEvPT_PKS3_iiiiiil.has_dyn_sized_stack, 0
	.set _ZN2at6native12_GLOBAL__N_124adaptiveaveragegradinputIffEEvPT_PKS3_iiiiiil.has_recursion, 0
	.set _ZN2at6native12_GLOBAL__N_124adaptiveaveragegradinputIffEEvPT_PKS3_iiiiiil.has_indirect_call, 0
	.section	.AMDGPU.csdata,"",@progbits
; Kernel info:
; codeLenInByte = 13620
; TotalNumSgprs: 70
; NumVgprs: 50
; ScratchSize: 0
; MemoryBound: 0
; FloatMode: 240
; IeeeMode: 1
; LDSByteSize: 0 bytes/workgroup (compile time only)
; SGPRBlocks: 0
; VGPRBlocks: 3
; NumSGPRsForWavesPerEU: 70
; NumVGPRsForWavesPerEU: 50
; NamedBarCnt: 0
; Occupancy: 16
; WaveLimiterHint : 0
; COMPUTE_PGM_RSRC2:SCRATCH_EN: 0
; COMPUTE_PGM_RSRC2:USER_SGPR: 2
; COMPUTE_PGM_RSRC2:TRAP_HANDLER: 0
; COMPUTE_PGM_RSRC2:TGID_X_EN: 1
; COMPUTE_PGM_RSRC2:TGID_Y_EN: 1
; COMPUTE_PGM_RSRC2:TGID_Z_EN: 0
; COMPUTE_PGM_RSRC2:TIDIG_COMP_CNT: 1
	.section	.text._ZN2at6native12_GLOBAL__N_124adaptiveaveragegradinputIN3c104HalfEfEEvPT_PKS5_iiiiiil,"axG",@progbits,_ZN2at6native12_GLOBAL__N_124adaptiveaveragegradinputIN3c104HalfEfEEvPT_PKS5_iiiiiil,comdat
	.globl	_ZN2at6native12_GLOBAL__N_124adaptiveaveragegradinputIN3c104HalfEfEEvPT_PKS5_iiiiiil ; -- Begin function _ZN2at6native12_GLOBAL__N_124adaptiveaveragegradinputIN3c104HalfEfEEvPT_PKS5_iiiiiil
	.p2align	8
	.type	_ZN2at6native12_GLOBAL__N_124adaptiveaveragegradinputIN3c104HalfEfEEvPT_PKS5_iiiiiil,@function
_ZN2at6native12_GLOBAL__N_124adaptiveaveragegradinputIN3c104HalfEfEEvPT_PKS5_iiiiiil: ; @_ZN2at6native12_GLOBAL__N_124adaptiveaveragegradinputIN3c104HalfEfEEvPT_PKS5_iiiiiil
; %bb.0:
	s_load_b256 s[4:11], s[0:1], 0x10
	s_bfe_u32 s2, ttmp6, 0x4000c
	s_and_b32 s3, ttmp6, 15
	s_add_co_i32 s2, s2, 1
	s_getreg_b32 s26, hwreg(HW_REG_IB_STS2, 6, 4)
	s_mul_i32 s2, ttmp9, s2
	s_mov_b32 s13, 0
	s_add_co_i32 s3, s3, s2
	s_cmp_eq_u32 s26, 0
	s_cselect_b32 s12, ttmp9, s3
	s_wait_kmcnt 0x0
	s_add_nc_u64 s[2:3], s[10:11], s[12:13]
	s_ashr_i32 s11, s4, 31
	s_mov_b32 s10, s4
	s_delay_alu instid0(SALU_CYCLE_1) | instskip(NEXT) | instid1(SALU_CYCLE_1)
	s_or_b64 s[14:15], s[2:3], s[10:11]
	s_and_b64 s[14:15], s[14:15], 0xffffffff00000000
	s_delay_alu instid0(SALU_CYCLE_1)
	s_cmp_lg_u64 s[14:15], 0
	s_cbranch_scc0 .LBB10_85
; %bb.1:
	s_ashr_i32 s14, s11, 31
	s_delay_alu instid0(SALU_CYCLE_1) | instskip(NEXT) | instid1(SALU_CYCLE_1)
	s_mov_b32 s15, s14
	s_add_nc_u64 s[16:17], s[10:11], s[14:15]
	s_delay_alu instid0(SALU_CYCLE_1) | instskip(NEXT) | instid1(SALU_CYCLE_1)
	s_xor_b64 s[16:17], s[16:17], s[14:15]
	s_cvt_f32_u32 s4, s16
	s_cvt_f32_u32 s12, s17
	s_sub_nc_u64 s[20:21], 0, s[16:17]
	s_delay_alu instid0(SALU_CYCLE_2) | instskip(NEXT) | instid1(SALU_CYCLE_3)
	s_fmamk_f32 s4, s12, 0x4f800000, s4
	v_s_rcp_f32 s4, s4
	s_delay_alu instid0(TRANS32_DEP_1) | instskip(NEXT) | instid1(SALU_CYCLE_3)
	s_mul_f32 s4, s4, 0x5f7ffffc
	s_mul_f32 s12, s4, 0x2f800000
	s_delay_alu instid0(SALU_CYCLE_3) | instskip(NEXT) | instid1(SALU_CYCLE_3)
	s_trunc_f32 s12, s12
	s_fmamk_f32 s4, s12, 0xcf800000, s4
	s_cvt_u32_f32 s19, s12
	s_delay_alu instid0(SALU_CYCLE_2) | instskip(NEXT) | instid1(SALU_CYCLE_3)
	s_cvt_u32_f32 s18, s4
	s_mul_u64 s[22:23], s[20:21], s[18:19]
	s_delay_alu instid0(SALU_CYCLE_1)
	s_mul_hi_u32 s25, s18, s23
	s_mul_i32 s24, s18, s23
	s_mul_hi_u32 s12, s18, s22
	s_mul_i32 s27, s19, s22
	s_add_nc_u64 s[24:25], s[12:13], s[24:25]
	s_mul_hi_u32 s4, s19, s22
	s_mul_hi_u32 s28, s19, s23
	s_add_co_u32 s12, s24, s27
	s_add_co_ci_u32 s12, s25, s4
	s_mul_i32 s22, s19, s23
	s_add_co_ci_u32 s23, s28, 0
	s_delay_alu instid0(SALU_CYCLE_1) | instskip(NEXT) | instid1(SALU_CYCLE_1)
	s_add_nc_u64 s[22:23], s[12:13], s[22:23]
	s_add_co_u32 s18, s18, s22
	s_cselect_b32 s4, -1, 0
	s_delay_alu instid0(SALU_CYCLE_1) | instskip(SKIP_1) | instid1(SALU_CYCLE_1)
	s_cmp_lg_u32 s4, 0
	s_add_co_ci_u32 s19, s19, s23
	s_mul_u64 s[20:21], s[20:21], s[18:19]
	s_delay_alu instid0(SALU_CYCLE_1)
	s_mul_hi_u32 s23, s18, s21
	s_mul_i32 s22, s18, s21
	s_mul_hi_u32 s12, s18, s20
	s_mul_i32 s24, s19, s20
	s_add_nc_u64 s[22:23], s[12:13], s[22:23]
	s_mul_hi_u32 s4, s19, s20
	s_mul_hi_u32 s25, s19, s21
	s_add_co_u32 s12, s22, s24
	s_add_co_ci_u32 s12, s23, s4
	s_mul_i32 s20, s19, s21
	s_add_co_ci_u32 s21, s25, 0
	s_delay_alu instid0(SALU_CYCLE_1) | instskip(NEXT) | instid1(SALU_CYCLE_1)
	s_add_nc_u64 s[20:21], s[12:13], s[20:21]
	s_add_co_u32 s4, s18, s20
	s_cselect_b32 s12, -1, 0
	s_delay_alu instid0(SALU_CYCLE_1) | instskip(SKIP_2) | instid1(SALU_CYCLE_1)
	s_cmp_lg_u32 s12, 0
	s_add_co_ci_u32 s24, s19, s21
	s_ashr_i32 s18, s3, 31
	s_mov_b32 s19, s18
	s_delay_alu instid0(SALU_CYCLE_1) | instskip(NEXT) | instid1(SALU_CYCLE_1)
	s_add_nc_u64 s[20:21], s[2:3], s[18:19]
	s_xor_b64 s[20:21], s[20:21], s[18:19]
	s_delay_alu instid0(SALU_CYCLE_1)
	s_mul_hi_u32 s23, s20, s24
	s_mul_i32 s22, s20, s24
	s_mul_hi_u32 s12, s20, s4
	s_mul_hi_u32 s27, s21, s4
	s_mul_i32 s4, s21, s4
	s_add_nc_u64 s[22:23], s[12:13], s[22:23]
	s_mul_hi_u32 s25, s21, s24
	s_add_co_u32 s4, s22, s4
	s_add_co_ci_u32 s12, s23, s27
	s_mul_i32 s24, s21, s24
	s_add_co_ci_u32 s25, s25, 0
	s_delay_alu instid0(SALU_CYCLE_1) | instskip(NEXT) | instid1(SALU_CYCLE_1)
	s_add_nc_u64 s[22:23], s[12:13], s[24:25]
	s_and_b64 s[24:25], s[22:23], 0xffffffff00000000
	s_delay_alu instid0(SALU_CYCLE_1) | instskip(NEXT) | instid1(SALU_CYCLE_1)
	s_or_b32 s24, s24, s22
	s_mul_u64 s[22:23], s[16:17], s[24:25]
	s_add_nc_u64 s[28:29], s[24:25], 1
	s_sub_co_u32 s4, s20, s22
	s_cselect_b32 s12, -1, 0
	s_sub_co_i32 s20, s21, s23
	s_cmp_lg_u32 s12, 0
	s_add_nc_u64 s[30:31], s[24:25], 2
	s_sub_co_ci_u32 s20, s20, s17
	s_sub_co_u32 s22, s4, s16
	s_cselect_b32 s27, -1, 0
	s_delay_alu instid0(SALU_CYCLE_1) | instskip(SKIP_1) | instid1(SALU_CYCLE_1)
	s_cmp_lg_u32 s27, 0
	s_sub_co_ci_u32 s20, s20, 0
	s_cmp_ge_u32 s20, s17
	s_cselect_b32 s27, -1, 0
	s_cmp_ge_u32 s22, s16
	s_cselect_b32 s22, -1, 0
	s_cmp_eq_u32 s20, s17
	s_cselect_b32 s20, s22, s27
	s_delay_alu instid0(SALU_CYCLE_1) | instskip(SKIP_4) | instid1(SALU_CYCLE_1)
	s_cmp_lg_u32 s20, 0
	s_cselect_b32 s20, s30, s28
	s_cselect_b32 s22, s31, s29
	s_cmp_lg_u32 s12, 0
	s_sub_co_ci_u32 s12, s21, s23
	s_cmp_ge_u32 s12, s17
	s_cselect_b32 s21, -1, 0
	s_cmp_ge_u32 s4, s16
	s_cselect_b32 s4, -1, 0
	s_cmp_eq_u32 s12, s17
	s_cselect_b32 s4, s4, s21
	s_delay_alu instid0(SALU_CYCLE_1) | instskip(SKIP_3) | instid1(SALU_CYCLE_1)
	s_cmp_lg_u32 s4, 0
	s_cselect_b32 s17, s22, s25
	s_cselect_b32 s16, s20, s24
	s_xor_b64 s[14:15], s[18:19], s[14:15]
	s_xor_b64 s[16:17], s[16:17], s[14:15]
	s_delay_alu instid0(SALU_CYCLE_1)
	s_sub_nc_u64 s[14:15], s[16:17], s[14:15]
	v_cvt_f32_u32_e32 v1, s10
	s_and_not1_b32 vcc_lo, exec_lo, s13
	s_cbranch_vccnz .LBB10_3
.LBB10_2:
	s_delay_alu instid0(VALU_DEP_1) | instskip(SKIP_3) | instid1(TRANS32_DEP_1)
	v_rcp_iflag_f32_e32 v2, v1
	s_sub_co_i32 s12, 0, s10
	s_mov_b32 s15, 0
	v_nop
	v_mul_f32_e32 v2, 0x4f7ffffe, v2
	s_delay_alu instid0(VALU_DEP_1) | instskip(NEXT) | instid1(VALU_DEP_1)
	v_cvt_u32_f32_e32 v2, v2
	v_readfirstlane_b32 s4, v2
	s_mul_i32 s12, s12, s4
	s_delay_alu instid0(SALU_CYCLE_1) | instskip(NEXT) | instid1(SALU_CYCLE_1)
	s_mul_hi_u32 s12, s4, s12
	s_add_co_i32 s4, s4, s12
	s_delay_alu instid0(SALU_CYCLE_1) | instskip(NEXT) | instid1(SALU_CYCLE_1)
	s_mul_hi_u32 s4, s2, s4
	s_mul_i32 s12, s4, s10
	s_add_co_i32 s13, s4, 1
	s_sub_co_i32 s12, s2, s12
	s_delay_alu instid0(SALU_CYCLE_1)
	s_sub_co_i32 s14, s12, s10
	s_cmp_ge_u32 s12, s10
	s_cselect_b32 s4, s13, s4
	s_cselect_b32 s12, s14, s12
	s_add_co_i32 s13, s4, 1
	s_cmp_ge_u32 s12, s10
	s_cselect_b32 s14, s13, s4
.LBB10_3:
	s_abs_i32 s4, s10
	s_mov_b32 s23, 0
	s_cvt_f32_u32 s12, s4
	s_sub_co_i32 s16, 0, s4
	s_delay_alu instid0(SALU_CYCLE_2) | instskip(SKIP_1) | instid1(TRANS32_DEP_1)
	v_rcp_iflag_f32_e32 v2, s12
	v_nop
	v_readfirstlane_b32 s12, v2
	s_mul_f32 s12, s12, 0x4f7ffffe
	s_delay_alu instid0(SALU_CYCLE_3) | instskip(SKIP_1) | instid1(SALU_CYCLE_2)
	s_cvt_u32_f32 s18, s12
	s_mul_u64 s[12:13], s[14:15], s[10:11]
	s_mul_i32 s15, s16, s18
	s_sub_nc_u64 s[16:17], s[2:3], s[12:13]
	s_mul_hi_u32 s12, s18, s15
	s_abs_i32 s15, s16
	s_add_co_i32 s18, s18, s12
	s_ashr_i32 s13, s7, 31
	s_mul_hi_u32 s12, s15, s18
	s_xor_b32 s18, s16, s10
	s_mul_i32 s19, s12, s4
	s_ashr_i32 s18, s18, 31
	s_sub_co_i32 s15, s15, s19
	s_add_co_i32 s19, s12, 1
	s_sub_co_i32 s20, s15, s4
	s_cmp_ge_u32 s15, s4
	s_cselect_b32 s12, s19, s12
	s_cselect_b32 s15, s20, s15
	s_add_co_i32 s19, s12, 1
	s_cmp_ge_u32 s15, s4
	s_cselect_b32 s4, s19, s12
	s_delay_alu instid0(SALU_CYCLE_1) | instskip(NEXT) | instid1(SALU_CYCLE_1)
	s_xor_b32 s4, s4, s18
	s_sub_co_i32 s4, s4, s18
	s_delay_alu instid0(SALU_CYCLE_1) | instskip(NEXT) | instid1(SALU_CYCLE_1)
	s_mul_i32 s12, s4, s10
	s_sub_co_i32 s18, s16, s12
	s_mov_b32 s12, s7
	s_ashr_i32 s19, s18, 31
	s_delay_alu instid0(SALU_CYCLE_1) | instskip(NEXT) | instid1(SALU_CYCLE_1)
	s_mul_u64 s[18:19], s[18:19], s[12:13]
	s_or_b64 s[20:21], s[18:19], s[10:11]
	s_delay_alu instid0(SALU_CYCLE_1) | instskip(NEXT) | instid1(SALU_CYCLE_1)
	s_and_b64 s[20:21], s[20:21], 0xffffffff00000000
	s_cmp_lg_u64 s[20:21], 0
	s_cbranch_scc0 .LBB10_86
; %bb.4:
	s_ashr_i32 s20, s11, 31
	s_delay_alu instid0(SALU_CYCLE_1) | instskip(NEXT) | instid1(SALU_CYCLE_1)
	s_mov_b32 s21, s20
	s_add_nc_u64 s[24:25], s[10:11], s[20:21]
	s_delay_alu instid0(SALU_CYCLE_1) | instskip(NEXT) | instid1(SALU_CYCLE_1)
	s_xor_b64 s[24:25], s[24:25], s[20:21]
	s_cvt_f32_u32 s15, s24
	s_cvt_f32_u32 s22, s25
	s_sub_nc_u64 s[30:31], 0, s[24:25]
	s_delay_alu instid0(SALU_CYCLE_2) | instskip(NEXT) | instid1(SALU_CYCLE_3)
	s_fmamk_f32 s15, s22, 0x4f800000, s15
	v_s_rcp_f32 s15, s15
	s_delay_alu instid0(TRANS32_DEP_1) | instskip(NEXT) | instid1(SALU_CYCLE_3)
	s_mul_f32 s15, s15, 0x5f7ffffc
	s_mul_f32 s22, s15, 0x2f800000
	s_delay_alu instid0(SALU_CYCLE_3) | instskip(NEXT) | instid1(SALU_CYCLE_3)
	s_trunc_f32 s22, s22
	s_fmamk_f32 s15, s22, 0xcf800000, s15
	s_cvt_u32_f32 s29, s22
	s_delay_alu instid0(SALU_CYCLE_2) | instskip(NEXT) | instid1(SALU_CYCLE_3)
	s_cvt_u32_f32 s28, s15
	s_mul_u64 s[34:35], s[30:31], s[28:29]
	s_delay_alu instid0(SALU_CYCLE_1)
	s_mul_hi_u32 s37, s28, s35
	s_mul_i32 s36, s28, s35
	s_mul_hi_u32 s22, s28, s34
	s_mul_i32 s27, s29, s34
	s_add_nc_u64 s[36:37], s[22:23], s[36:37]
	s_mul_hi_u32 s15, s29, s34
	s_mul_hi_u32 s33, s29, s35
	s_add_co_u32 s22, s36, s27
	s_add_co_ci_u32 s22, s37, s15
	s_mul_i32 s34, s29, s35
	s_add_co_ci_u32 s35, s33, 0
	s_delay_alu instid0(SALU_CYCLE_1) | instskip(NEXT) | instid1(SALU_CYCLE_1)
	s_add_nc_u64 s[34:35], s[22:23], s[34:35]
	s_add_co_u32 s28, s28, s34
	s_cselect_b32 s15, -1, 0
	s_delay_alu instid0(SALU_CYCLE_1) | instskip(SKIP_1) | instid1(SALU_CYCLE_1)
	s_cmp_lg_u32 s15, 0
	s_add_co_ci_u32 s29, s29, s35
	s_mul_u64 s[30:31], s[30:31], s[28:29]
	s_delay_alu instid0(SALU_CYCLE_1)
	s_mul_hi_u32 s35, s28, s31
	s_mul_i32 s34, s28, s31
	s_mul_hi_u32 s22, s28, s30
	s_mul_i32 s27, s29, s30
	s_add_nc_u64 s[34:35], s[22:23], s[34:35]
	s_mul_hi_u32 s15, s29, s30
	s_mul_hi_u32 s33, s29, s31
	s_add_co_u32 s22, s34, s27
	s_add_co_ci_u32 s22, s35, s15
	s_mul_i32 s30, s29, s31
	s_add_co_ci_u32 s31, s33, 0
	s_delay_alu instid0(SALU_CYCLE_1) | instskip(NEXT) | instid1(SALU_CYCLE_1)
	s_add_nc_u64 s[30:31], s[22:23], s[30:31]
	s_add_co_u32 s15, s28, s30
	s_cselect_b32 s22, -1, 0
	s_delay_alu instid0(SALU_CYCLE_1) | instskip(SKIP_2) | instid1(SALU_CYCLE_1)
	s_cmp_lg_u32 s22, 0
	s_add_co_ci_u32 s27, s29, s31
	s_ashr_i32 s28, s19, 31
	s_mov_b32 s29, s28
	s_delay_alu instid0(SALU_CYCLE_1) | instskip(NEXT) | instid1(SALU_CYCLE_1)
	s_add_nc_u64 s[30:31], s[18:19], s[28:29]
	s_xor_b64 s[30:31], s[30:31], s[28:29]
	s_delay_alu instid0(SALU_CYCLE_1)
	s_mul_hi_u32 s35, s30, s27
	s_mul_i32 s34, s30, s27
	s_mul_hi_u32 s22, s30, s15
	s_mul_hi_u32 s33, s31, s15
	s_mul_i32 s15, s31, s15
	s_add_nc_u64 s[34:35], s[22:23], s[34:35]
	s_mul_hi_u32 s19, s31, s27
	s_add_co_u32 s15, s34, s15
	s_add_co_ci_u32 s22, s35, s33
	s_mul_i32 s36, s31, s27
	s_add_co_ci_u32 s37, s19, 0
	s_delay_alu instid0(SALU_CYCLE_1) | instskip(NEXT) | instid1(SALU_CYCLE_1)
	s_add_nc_u64 s[34:35], s[22:23], s[36:37]
	s_and_b64 s[36:37], s[34:35], 0xffffffff00000000
	s_delay_alu instid0(SALU_CYCLE_1) | instskip(NEXT) | instid1(SALU_CYCLE_1)
	s_or_b32 s36, s36, s34
	s_mul_u64 s[34:35], s[24:25], s[36:37]
	s_add_nc_u64 s[38:39], s[36:37], 1
	s_sub_co_u32 s15, s30, s34
	s_cselect_b32 s19, -1, 0
	s_sub_co_i32 s22, s31, s35
	s_cmp_lg_u32 s19, 0
	s_add_nc_u64 s[40:41], s[36:37], 2
	s_sub_co_ci_u32 s22, s22, s25
	s_sub_co_u32 s27, s15, s24
	s_cselect_b32 s30, -1, 0
	s_delay_alu instid0(SALU_CYCLE_1) | instskip(SKIP_1) | instid1(SALU_CYCLE_1)
	s_cmp_lg_u32 s30, 0
	s_sub_co_ci_u32 s22, s22, 0
	s_cmp_ge_u32 s22, s25
	s_cselect_b32 s30, -1, 0
	s_cmp_ge_u32 s27, s24
	s_cselect_b32 s27, -1, 0
	s_cmp_eq_u32 s22, s25
	s_cselect_b32 s22, s27, s30
	s_delay_alu instid0(SALU_CYCLE_1) | instskip(SKIP_4) | instid1(SALU_CYCLE_1)
	s_cmp_lg_u32 s22, 0
	s_cselect_b32 s22, s40, s38
	s_cselect_b32 s27, s41, s39
	s_cmp_lg_u32 s19, 0
	s_sub_co_ci_u32 s19, s31, s35
	s_cmp_ge_u32 s19, s25
	s_cselect_b32 s30, -1, 0
	s_cmp_ge_u32 s15, s24
	s_cselect_b32 s15, -1, 0
	s_cmp_eq_u32 s19, s25
	s_cselect_b32 s15, s15, s30
	s_delay_alu instid0(SALU_CYCLE_1) | instskip(SKIP_3) | instid1(SALU_CYCLE_1)
	s_cmp_lg_u32 s15, 0
	s_cselect_b32 s25, s27, s37
	s_cselect_b32 s24, s22, s36
	s_xor_b64 s[20:21], s[28:29], s[20:21]
	s_xor_b64 s[24:25], s[24:25], s[20:21]
	s_delay_alu instid0(SALU_CYCLE_1)
	s_sub_nc_u64 s[20:21], s[24:25], s[20:21]
	s_and_not1_b32 vcc_lo, exec_lo, s23
	s_cbranch_vccnz .LBB10_6
.LBB10_5:
	v_rcp_iflag_f32_e32 v2, v1
	s_sub_co_i32 s19, 0, s10
	v_nop
	s_delay_alu instid0(TRANS32_DEP_1) | instskip(NEXT) | instid1(VALU_DEP_1)
	v_mul_f32_e32 v2, 0x4f7ffffe, v2
	v_cvt_u32_f32_e32 v2, v2
	s_delay_alu instid0(VALU_DEP_1) | instskip(SKIP_1) | instid1(SALU_CYCLE_1)
	v_readfirstlane_b32 s15, v2
	s_mul_i32 s19, s19, s15
	s_mul_hi_u32 s19, s15, s19
	s_delay_alu instid0(SALU_CYCLE_1) | instskip(NEXT) | instid1(SALU_CYCLE_1)
	s_add_co_i32 s15, s15, s19
	s_mul_hi_u32 s15, s18, s15
	s_delay_alu instid0(SALU_CYCLE_1) | instskip(NEXT) | instid1(SALU_CYCLE_1)
	s_mul_i32 s19, s15, s10
	s_sub_co_i32 s18, s18, s19
	s_add_co_i32 s19, s15, 1
	s_sub_co_i32 s20, s18, s10
	s_cmp_ge_u32 s18, s10
	s_cselect_b32 s15, s19, s15
	s_cselect_b32 s18, s20, s18
	s_add_co_i32 s19, s15, 1
	s_cmp_ge_u32 s18, s10
	s_cselect_b32 s20, s19, s15
.LBB10_6:
	s_add_nc_u64 s[16:17], s[16:17], 1
	s_delay_alu instid0(SALU_CYCLE_1) | instskip(NEXT) | instid1(SALU_CYCLE_1)
	s_mul_u64 s[16:17], s[16:17], s[12:13]
	s_add_nc_u64 s[16:17], s[16:17], -1
	s_delay_alu instid0(SALU_CYCLE_1) | instskip(NEXT) | instid1(SALU_CYCLE_1)
	s_or_b64 s[18:19], s[16:17], s[10:11]
	s_and_b64 s[18:19], s[18:19], 0xffffffff00000000
	s_delay_alu instid0(SALU_CYCLE_1)
	s_cmp_lg_u64 s[18:19], 0
	s_cbranch_scc0 .LBB10_87
; %bb.7:
	s_ashr_i32 s18, s11, 31
	s_delay_alu instid0(SALU_CYCLE_1) | instskip(NEXT) | instid1(SALU_CYCLE_1)
	s_mov_b32 s19, s18
	s_add_nc_u64 s[22:23], s[10:11], s[18:19]
	s_delay_alu instid0(SALU_CYCLE_1) | instskip(SKIP_4) | instid1(SALU_CYCLE_2)
	s_xor_b64 s[24:25], s[22:23], s[18:19]
	s_mov_b32 s23, 0
	s_cvt_f32_u32 s15, s24
	s_cvt_f32_u32 s21, s25
	s_sub_nc_u64 s[30:31], 0, s[24:25]
	s_fmamk_f32 s15, s21, 0x4f800000, s15
	s_delay_alu instid0(SALU_CYCLE_3) | instskip(NEXT) | instid1(TRANS32_DEP_1)
	v_s_rcp_f32 s15, s15
	s_mul_f32 s15, s15, 0x5f7ffffc
	s_delay_alu instid0(SALU_CYCLE_3) | instskip(NEXT) | instid1(SALU_CYCLE_3)
	s_mul_f32 s21, s15, 0x2f800000
	s_trunc_f32 s21, s21
	s_delay_alu instid0(SALU_CYCLE_3) | instskip(SKIP_1) | instid1(SALU_CYCLE_2)
	s_fmamk_f32 s15, s21, 0xcf800000, s15
	s_cvt_u32_f32 s29, s21
	s_cvt_u32_f32 s28, s15
	s_delay_alu instid0(SALU_CYCLE_3) | instskip(NEXT) | instid1(SALU_CYCLE_1)
	s_mul_u64 s[34:35], s[30:31], s[28:29]
	s_mul_hi_u32 s37, s28, s35
	s_mul_i32 s36, s28, s35
	s_mul_hi_u32 s22, s28, s34
	s_mul_i32 s21, s29, s34
	s_add_nc_u64 s[36:37], s[22:23], s[36:37]
	s_mul_hi_u32 s15, s29, s34
	s_mul_hi_u32 s27, s29, s35
	s_add_co_u32 s21, s36, s21
	s_add_co_ci_u32 s22, s37, s15
	s_mul_i32 s34, s29, s35
	s_add_co_ci_u32 s35, s27, 0
	s_delay_alu instid0(SALU_CYCLE_1) | instskip(NEXT) | instid1(SALU_CYCLE_1)
	s_add_nc_u64 s[34:35], s[22:23], s[34:35]
	s_add_co_u32 s28, s28, s34
	s_cselect_b32 s15, -1, 0
	s_delay_alu instid0(SALU_CYCLE_1) | instskip(SKIP_1) | instid1(SALU_CYCLE_1)
	s_cmp_lg_u32 s15, 0
	s_add_co_ci_u32 s29, s29, s35
	s_mul_u64 s[30:31], s[30:31], s[28:29]
	s_delay_alu instid0(SALU_CYCLE_1)
	s_mul_hi_u32 s35, s28, s31
	s_mul_i32 s34, s28, s31
	s_mul_hi_u32 s22, s28, s30
	s_mul_i32 s21, s29, s30
	s_add_nc_u64 s[34:35], s[22:23], s[34:35]
	s_mul_hi_u32 s15, s29, s30
	s_mul_hi_u32 s27, s29, s31
	s_add_co_u32 s21, s34, s21
	s_add_co_ci_u32 s22, s35, s15
	s_mul_i32 s30, s29, s31
	s_add_co_ci_u32 s31, s27, 0
	s_delay_alu instid0(SALU_CYCLE_1) | instskip(NEXT) | instid1(SALU_CYCLE_1)
	s_add_nc_u64 s[30:31], s[22:23], s[30:31]
	s_add_co_u32 s15, s28, s30
	s_cselect_b32 s21, -1, 0
	s_delay_alu instid0(SALU_CYCLE_1) | instskip(SKIP_2) | instid1(SALU_CYCLE_1)
	s_cmp_lg_u32 s21, 0
	s_add_co_ci_u32 s21, s29, s31
	s_ashr_i32 s28, s17, 31
	s_mov_b32 s29, s28
	s_delay_alu instid0(SALU_CYCLE_1) | instskip(NEXT) | instid1(SALU_CYCLE_1)
	s_add_nc_u64 s[30:31], s[16:17], s[28:29]
	s_xor_b64 s[30:31], s[30:31], s[28:29]
	s_delay_alu instid0(SALU_CYCLE_1)
	s_mul_hi_u32 s35, s30, s21
	s_mul_i32 s34, s30, s21
	s_mul_hi_u32 s22, s30, s15
	s_mul_hi_u32 s27, s31, s15
	s_mul_i32 s15, s31, s15
	s_add_nc_u64 s[34:35], s[22:23], s[34:35]
	s_mul_hi_u32 s17, s31, s21
	s_add_co_u32 s15, s34, s15
	s_add_co_ci_u32 s22, s35, s27
	s_mul_i32 s36, s31, s21
	s_add_co_ci_u32 s37, s17, 0
	s_delay_alu instid0(SALU_CYCLE_1) | instskip(NEXT) | instid1(SALU_CYCLE_1)
	s_add_nc_u64 s[34:35], s[22:23], s[36:37]
	s_and_b64 s[36:37], s[34:35], 0xffffffff00000000
	s_delay_alu instid0(SALU_CYCLE_1) | instskip(NEXT) | instid1(SALU_CYCLE_1)
	s_or_b32 s36, s36, s34
	s_mul_u64 s[34:35], s[24:25], s[36:37]
	s_add_nc_u64 s[38:39], s[36:37], 1
	s_sub_co_u32 s15, s30, s34
	s_cselect_b32 s17, -1, 0
	s_sub_co_i32 s21, s31, s35
	s_cmp_lg_u32 s17, 0
	s_add_nc_u64 s[40:41], s[36:37], 2
	s_sub_co_ci_u32 s21, s21, s25
	s_sub_co_u32 s22, s15, s24
	s_cselect_b32 s27, -1, 0
	s_delay_alu instid0(SALU_CYCLE_1) | instskip(SKIP_1) | instid1(SALU_CYCLE_1)
	s_cmp_lg_u32 s27, 0
	s_sub_co_ci_u32 s21, s21, 0
	s_cmp_ge_u32 s21, s25
	s_cselect_b32 s27, -1, 0
	s_cmp_ge_u32 s22, s24
	s_cselect_b32 s22, -1, 0
	s_cmp_eq_u32 s21, s25
	s_cselect_b32 s21, s22, s27
	s_delay_alu instid0(SALU_CYCLE_1) | instskip(SKIP_4) | instid1(SALU_CYCLE_1)
	s_cmp_lg_u32 s21, 0
	s_cselect_b32 s21, s40, s38
	s_cselect_b32 s22, s41, s39
	s_cmp_lg_u32 s17, 0
	s_sub_co_ci_u32 s17, s31, s35
	s_cmp_ge_u32 s17, s25
	s_cselect_b32 s27, -1, 0
	s_cmp_ge_u32 s15, s24
	s_cselect_b32 s15, -1, 0
	s_cmp_eq_u32 s17, s25
	s_cselect_b32 s15, s15, s27
	s_delay_alu instid0(SALU_CYCLE_1) | instskip(SKIP_3) | instid1(SALU_CYCLE_1)
	s_cmp_lg_u32 s15, 0
	s_cselect_b32 s25, s22, s37
	s_cselect_b32 s24, s21, s36
	s_xor_b64 s[18:19], s[28:29], s[18:19]
	s_xor_b64 s[24:25], s[24:25], s[18:19]
	s_delay_alu instid0(SALU_CYCLE_1)
	s_sub_nc_u64 s[24:25], s[24:25], s[18:19]
	s_load_b32 s21, s[0:1], 0x3c
	s_cbranch_execnz .LBB10_9
.LBB10_8:
	v_rcp_iflag_f32_e32 v1, v1
	s_sub_co_i32 s17, 0, s10
	v_nop
	s_delay_alu instid0(TRANS32_DEP_1) | instskip(NEXT) | instid1(VALU_DEP_1)
	v_mul_f32_e32 v1, 0x4f7ffffe, v1
	v_cvt_u32_f32_e32 v1, v1
	s_delay_alu instid0(VALU_DEP_1) | instskip(SKIP_1) | instid1(SALU_CYCLE_1)
	v_readfirstlane_b32 s15, v1
	s_mul_i32 s17, s17, s15
	s_mul_hi_u32 s17, s15, s17
	s_delay_alu instid0(SALU_CYCLE_1) | instskip(NEXT) | instid1(SALU_CYCLE_1)
	s_add_co_i32 s15, s15, s17
	s_mul_hi_u32 s15, s16, s15
	s_delay_alu instid0(SALU_CYCLE_1) | instskip(NEXT) | instid1(SALU_CYCLE_1)
	s_mul_i32 s17, s15, s10
	s_sub_co_i32 s16, s16, s17
	s_add_co_i32 s17, s15, 1
	s_sub_co_i32 s18, s16, s10
	s_cmp_ge_u32 s16, s10
	s_cselect_b32 s15, s17, s15
	s_cselect_b32 s16, s18, s16
	s_add_co_i32 s17, s15, 1
	s_cmp_ge_u32 s16, s10
	s_cselect_b32 s24, s17, s15
.LBB10_9:
	s_bfe_u32 s15, ttmp6, 0x40010
	s_bfe_u32 s16, ttmp6, 0x40004
	s_add_co_i32 s15, s15, 1
	s_wait_kmcnt 0x0
	s_lshr_b32 s28, s21, 16
	s_mul_i32 s15, ttmp7, s15
	v_bfe_u32 v1, v0, 10, 10
	s_add_co_i32 s16, s16, s15
	s_cmp_eq_u32 s26, 0
	s_cselect_b32 s15, ttmp7, s16
	s_mov_b32 s16, exec_lo
	v_mad_u32 v2, s15, s28, v1
	s_mov_b32 s15, 0
	s_delay_alu instid0(VALU_DEP_1)
	v_cmpx_gt_i32_e64 s5, v2
	s_cbranch_execz .LBB10_84
; %bb.10:
	s_mov_b32 s16, s5
	s_ashr_i32 s17, s5, 31
	v_cvt_f32_u32_e32 v1, s16
	s_ashr_i32 s19, s6, 31
	s_mov_b32 s18, s6
	s_mul_i32 s4, s4, s12
	s_mul_u64 s[22:23], s[18:19], s[16:17]
	v_rcp_iflag_f32_e32 v1, v1
	s_add_co_i32 s4, s20, s4
	s_mul_u64 s[2:3], s[22:23], s[2:3]
	s_mul_i32 s7, s7, s14
	s_add_co_i32 s33, s24, 1
	s_lshl_b64 s[2:3], s[2:3], 1
	s_add_co_i32 s14, s7, s4
	v_nop
	v_mul_f32_e32 v1, 0x4f7ffffe, v1
	s_and_b32 s7, s21, 0xffff
	s_ashr_i32 s21, s8, 31
	s_ashr_i32 s23, s9, 31
	v_and_b32_e32 v32, 0x3ff, v0
	v_mov_b32_e32 v0, 0
	v_cvt_u32_f32_e32 v1, v1
	s_cmp_gt_i32 s33, s4
	s_clause 0x1
	s_load_b32 s53, s[0:1], 0x34
	s_load_b128 s[36:39], s[0:1], 0x0
	s_cselect_b32 s50, -1, 0
	s_wait_xcnt 0x0
	s_sub_co_i32 s0, 0, s5
	s_ashr_i32 s51, s5, 31
	v_mul_lo_u32 v4, s0, v1
	s_add_co_i32 s20, s5, s51
	s_mul_i32 s30, s9, s8
	s_xor_b32 s52, s20, s51
	s_mul_i32 s26, s30, s14
	v_cvt_f32_u32_e32 v3, s52
	s_sub_co_i32 s1, 0, s52
	s_ashr_i32 s27, s26, 31
	v_cmp_gt_i32_e64 s0, s6, v32
	s_ashr_i32 s31, s30, 31
	v_rcp_iflag_f32_e32 v3, v3
	v_mul_hi_u32 v4, v1, v4
	s_lshl_b64 s[34:35], s[26:27], 1
	s_mov_b32 s20, s8
	s_mov_b32 s22, s9
	s_mov_b64 s[24:25], 0xffffffff
	s_wait_kmcnt 0x0
	s_add_nc_u64 s[26:27], s[36:37], s[2:3]
	v_mul_f32_e32 v3, 0x4f7ffffe, v3
	s_mul_i32 s53, s53, s28
	s_add_nc_u64 s[28:29], s[38:39], s[34:35]
	s_lshl_b64 s[30:31], s[30:31], 1
	s_ashr_i32 s34, s17, 31
	v_add_nc_u32_e32 v34, v1, v4
	v_cvt_u32_f32_e32 v3, v3
	s_mov_b32 s54, 0
	s_delay_alu instid0(VALU_DEP_1) | instskip(NEXT) | instid1(VALU_DEP_1)
	v_mul_lo_u32 v5, s1, v3
	v_mul_hi_u32 v5, v3, v5
	s_delay_alu instid0(VALU_DEP_1)
	v_add_nc_u32_e32 v33, v3, v5
	s_branch .LBB10_12
.LBB10_11:                              ;   in Loop: Header=BB10_12 Depth=1
	s_or_b32 exec_lo, exec_lo, s35
	v_add_nc_u32_e32 v2, s53, v2
	s_delay_alu instid0(VALU_DEP_1) | instskip(SKIP_1) | instid1(SALU_CYCLE_1)
	v_cmp_le_i32_e32 vcc_lo, s5, v2
	s_or_b32 s54, vcc_lo, s54
	s_and_not1_b32 exec_lo, exec_lo, s54
	s_cbranch_execz .LBB10_84
.LBB10_12:                              ; =>This Loop Header: Depth=1
                                        ;     Child Loop BB10_27 Depth 2
                                        ;       Child Loop BB10_42 Depth 3
                                        ;         Child Loop BB10_54 Depth 4
                                        ;           Child Loop BB10_69 Depth 5
	v_ashrrev_i32_e32 v3, 31, v2
	s_mov_b32 s1, exec_lo
                                        ; implicit-def: $vgpr4_vgpr5
	s_delay_alu instid0(VALU_DEP_1) | instskip(NEXT) | instid1(VALU_DEP_1)
	v_or_b32_e32 v1, s17, v3
	v_cmpx_ne_u64_e32 0, v[0:1]
	s_xor_b32 s1, exec_lo, s1
	s_cbranch_execz .LBB10_14
; %bb.13:                               ;   in Loop: Header=BB10_12 Depth=1
	v_ashrrev_i32_e32 v1, 31, v2
	s_delay_alu instid0(VALU_DEP_1) | instskip(NEXT) | instid1(VALU_DEP_1)
	v_add_nc_u32_e32 v4, v2, v1
	v_xor_b32_e32 v4, v4, v1
	s_delay_alu instid0(VALU_DEP_1) | instskip(NEXT) | instid1(VALU_DEP_1)
	v_mul_hi_u32 v5, v4, v33
	v_mul_lo_u32 v6, v5, s52
	s_delay_alu instid0(VALU_DEP_1) | instskip(SKIP_1) | instid1(VALU_DEP_2)
	v_dual_sub_nc_u32 v4, v4, v6 :: v_dual_add_nc_u32 v6, 1, v5
	v_xor_b32_e32 v1, s51, v1
	v_cmp_le_u32_e32 vcc_lo, s52, v4
	s_delay_alu instid0(VALU_DEP_3) | instskip(NEXT) | instid1(VALU_DEP_1)
	v_cndmask_b32_e32 v5, v5, v6, vcc_lo
	v_add_nc_u32_e32 v6, 1, v5
	v_subrev_nc_u32_e32 v7, s52, v4
	s_delay_alu instid0(VALU_DEP_1) | instskip(NEXT) | instid1(VALU_DEP_1)
	v_cndmask_b32_e32 v4, v4, v7, vcc_lo
	v_cmp_le_u32_e32 vcc_lo, s52, v4
	s_delay_alu instid0(VALU_DEP_4) | instskip(NEXT) | instid1(VALU_DEP_1)
	v_cndmask_b32_e32 v4, v5, v6, vcc_lo
	v_xor_b32_e32 v4, v4, v1
	s_delay_alu instid0(VALU_DEP_1) | instskip(NEXT) | instid1(VALU_DEP_1)
	v_sub_nc_u32_e32 v4, v4, v1
	v_ashrrev_i32_e32 v5, 31, v4
.LBB10_14:                              ;   in Loop: Header=BB10_12 Depth=1
	s_and_not1_saveexec_b32 s1, s1
	s_cbranch_execz .LBB10_16
; %bb.15:                               ;   in Loop: Header=BB10_12 Depth=1
	v_mul_hi_u32 v1, v2, v34
	s_delay_alu instid0(VALU_DEP_1) | instskip(NEXT) | instid1(VALU_DEP_1)
	v_mul_lo_u32 v4, v1, s16
	v_dual_add_nc_u32 v5, 1, v1 :: v_dual_sub_nc_u32 v4, v2, v4
	s_delay_alu instid0(VALU_DEP_1) | instskip(SKIP_1) | instid1(VALU_DEP_2)
	v_subrev_nc_u32_e32 v6, s16, v4
	v_cmp_le_u32_e32 vcc_lo, s16, v4
	v_dual_cndmask_b32 v4, v4, v6 :: v_dual_cndmask_b32 v1, v1, v5
	s_delay_alu instid0(VALU_DEP_1) | instskip(NEXT) | instid1(VALU_DEP_2)
	v_cmp_le_u32_e32 vcc_lo, s16, v4
	v_add_nc_u32_e32 v5, 1, v1
	s_delay_alu instid0(VALU_DEP_1)
	v_dual_cndmask_b32 v4, v1, v5 :: v_dual_mov_b32 v5, v0
.LBB10_16:                              ;   in Loop: Header=BB10_12 Depth=1
	s_or_b32 exec_lo, exec_lo, s1
	s_delay_alu instid0(VALU_DEP_1) | instskip(SKIP_1) | instid1(VALU_DEP_1)
	v_mul_u64_e32 v[6:7], s[16:17], v[4:5]
	s_mov_b32 s1, exec_lo
	v_sub_nc_u64_e32 v[6:7], v[2:3], v[6:7]
	s_delay_alu instid0(VALU_DEP_1) | instskip(NEXT) | instid1(VALU_DEP_1)
	v_mul_u64_e32 v[8:9], s[20:21], v[6:7]
                                        ; implicit-def: $vgpr6_vgpr7
	v_or_b32_e32 v1, s17, v9
	s_delay_alu instid0(VALU_DEP_1)
	v_cmpx_ne_u64_e32 0, v[0:1]
	s_xor_b32 s36, exec_lo, s1
	s_cbranch_execz .LBB10_18
; %bb.17:                               ;   in Loop: Header=BB10_12 Depth=1
	s_mov_b32 s35, s34
	v_dual_mov_b32 v11, v0 :: v_dual_ashrrev_i32 v6, 31, v9
	s_add_nc_u64 s[2:3], s[16:17], s[34:35]
	s_delay_alu instid0(SALU_CYCLE_1) | instskip(NEXT) | instid1(VALU_DEP_1)
	s_xor_b64 s[2:3], s[2:3], s[34:35]
	v_mov_b32_e32 v7, v6
	s_cvt_f32_u32 s1, s2
	s_cvt_f32_u32 s14, s3
	s_sub_nc_u64 s[40:41], 0, s[2:3]
	s_delay_alu instid0(VALU_DEP_1) | instskip(NEXT) | instid1(SALU_CYCLE_1)
	v_add_nc_u64_e32 v[8:9], v[8:9], v[6:7]
	s_fmamk_f32 s1, s14, 0x4f800000, s1
	v_mov_b32_e32 v15, v0
	s_delay_alu instid0(SALU_CYCLE_2) | instskip(NEXT) | instid1(VALU_DEP_2)
	v_s_rcp_f32 s1, s1
	v_xor_b32_e32 v10, v8, v6
	s_delay_alu instid0(VALU_DEP_3) | instskip(NEXT) | instid1(TRANS32_DEP_1)
	v_dual_mov_b32 v19, v0 :: v_dual_bitop2_b32 v14, v9, v6 bitop3:0x14
	s_mul_f32 s1, s1, 0x5f7ffffc
	s_delay_alu instid0(SALU_CYCLE_3) | instskip(NEXT) | instid1(SALU_CYCLE_3)
	s_mul_f32 s14, s1, 0x2f800000
	s_trunc_f32 s14, s14
	s_delay_alu instid0(SALU_CYCLE_3) | instskip(SKIP_1) | instid1(SALU_CYCLE_2)
	s_fmamk_f32 s1, s14, 0xcf800000, s1
	s_cvt_u32_f32 s39, s14
	s_cvt_u32_f32 s38, s1
	s_delay_alu instid0(SALU_CYCLE_3) | instskip(NEXT) | instid1(SALU_CYCLE_1)
	s_mul_u64 s[42:43], s[40:41], s[38:39]
	s_mul_hi_u32 s45, s38, s43
	s_mul_i32 s44, s38, s43
	s_mul_hi_u32 s14, s38, s42
	s_mul_i32 s35, s39, s42
	s_add_nc_u64 s[44:45], s[14:15], s[44:45]
	s_mul_hi_u32 s1, s39, s42
	s_mul_hi_u32 s37, s39, s43
	s_add_co_u32 s14, s44, s35
	s_add_co_ci_u32 s14, s45, s1
	s_mul_i32 s42, s39, s43
	s_add_co_ci_u32 s43, s37, 0
	s_delay_alu instid0(SALU_CYCLE_1) | instskip(NEXT) | instid1(SALU_CYCLE_1)
	s_add_nc_u64 s[42:43], s[14:15], s[42:43]
	s_add_co_u32 s38, s38, s42
	s_cselect_b32 s1, -1, 0
	s_delay_alu instid0(SALU_CYCLE_1) | instskip(SKIP_1) | instid1(SALU_CYCLE_1)
	s_cmp_lg_u32 s1, 0
	s_add_co_ci_u32 s39, s39, s43
	s_mul_u64 s[40:41], s[40:41], s[38:39]
	s_delay_alu instid0(SALU_CYCLE_1)
	s_mul_hi_u32 s43, s38, s41
	s_mul_i32 s42, s38, s41
	s_mul_hi_u32 s14, s38, s40
	s_mul_i32 s35, s39, s40
	s_add_nc_u64 s[42:43], s[14:15], s[42:43]
	s_mul_hi_u32 s1, s39, s40
	s_mul_hi_u32 s37, s39, s41
	s_add_co_u32 s14, s42, s35
	s_add_co_ci_u32 s14, s43, s1
	s_mul_i32 s40, s39, s41
	s_add_co_ci_u32 s41, s37, 0
	s_delay_alu instid0(SALU_CYCLE_1) | instskip(NEXT) | instid1(SALU_CYCLE_1)
	s_add_nc_u64 s[40:41], s[14:15], s[40:41]
	s_add_co_u32 s38, s38, s40
	s_cselect_b32 s1, -1, 0
	v_mul_hi_u32 v18, v10, s38
	s_cmp_lg_u32 s1, 0
	s_add_co_ci_u32 s14, s39, s41
	s_and_b64 s[40:41], s[38:39], s[24:25]
	v_mul_u64_e32 v[12:13], s[14:15], v[10:11]
	v_mul_u64_e32 v[8:9], s[40:41], v[14:15]
	;; [unrolled: 1-line block ×3, first 2 shown]
	s_delay_alu instid0(VALU_DEP_3) | instskip(NEXT) | instid1(VALU_DEP_1)
	v_add_nc_u64_e32 v[12:13], v[18:19], v[12:13]
	v_add_co_u32 v1, vcc_lo, v12, v8
	s_delay_alu instid0(VALU_DEP_2) | instskip(NEXT) | instid1(VALU_DEP_4)
	v_add_co_ci_u32_e32 v18, vcc_lo, v13, v9, vcc_lo
	v_add_co_ci_u32_e32 v17, vcc_lo, 0, v17, vcc_lo
	s_delay_alu instid0(VALU_DEP_1) | instskip(NEXT) | instid1(VALU_DEP_1)
	v_add_nc_u64_e32 v[8:9], v[18:19], v[16:17]
	v_mul_u64_e32 v[12:13], s[2:3], v[8:9]
	s_delay_alu instid0(VALU_DEP_1) | instskip(NEXT) | instid1(VALU_DEP_2)
	v_sub_nc_u32_e32 v1, v14, v13
	v_sub_co_u32 v5, vcc_lo, v10, v12
	s_delay_alu instid0(VALU_DEP_1) | instskip(NEXT) | instid1(VALU_DEP_3)
	v_sub_co_ci_u32_e64 v14, null, v14, v13, vcc_lo
	v_subrev_co_ci_u32_e64 v1, null, s3, v1, vcc_lo
	s_delay_alu instid0(VALU_DEP_3) | instskip(SKIP_1) | instid1(VALU_DEP_3)
	v_sub_co_u32 v7, s1, v5, s2
	v_add_nc_u64_e32 v[12:13], 1, v[8:9]
	v_subrev_co_ci_u32_e64 v1, null, 0, v1, s1
	s_delay_alu instid0(VALU_DEP_3) | instskip(SKIP_1) | instid1(VALU_DEP_3)
	v_cmp_le_u32_e32 vcc_lo, s2, v7
	v_cndmask_b32_e64 v7, 0, -1, vcc_lo
	v_cmp_le_u32_e32 vcc_lo, s3, v1
	v_cndmask_b32_e64 v10, 0, -1, vcc_lo
	;; [unrolled: 2-line block ×4, first 2 shown]
	v_cmp_eq_u32_e32 vcc_lo, s3, v1
	v_cndmask_b32_e32 v1, v10, v7, vcc_lo
	v_cmp_eq_u32_e32 vcc_lo, s3, v14
	v_add_nc_u64_e32 v[10:11], 2, v[8:9]
	v_cndmask_b32_e32 v5, v15, v5, vcc_lo
	s_delay_alu instid0(VALU_DEP_4) | instskip(NEXT) | instid1(VALU_DEP_2)
	v_cmp_ne_u32_e32 vcc_lo, 0, v1
	v_cmp_ne_u32_e64 s1, 0, v5
	s_delay_alu instid0(VALU_DEP_4) | instskip(NEXT) | instid1(VALU_DEP_1)
	v_dual_cndmask_b32 v1, v13, v11, vcc_lo :: v_dual_cndmask_b32 v5, v12, v10, vcc_lo
	v_dual_cndmask_b32 v1, v9, v1, s1 :: v_dual_bitop2_b32 v6, s34, v6 bitop3:0x14
	s_delay_alu instid0(VALU_DEP_1) | instskip(NEXT) | instid1(VALU_DEP_2)
	v_dual_cndmask_b32 v5, v8, v5, s1 :: v_dual_mov_b32 v7, v6
	v_xor_b32_e32 v9, v1, v6
	s_delay_alu instid0(VALU_DEP_2) | instskip(NEXT) | instid1(VALU_DEP_1)
	v_xor_b32_e32 v8, v5, v6
	v_sub_nc_u64_e32 v[6:7], v[8:9], v[6:7]
                                        ; implicit-def: $vgpr8_vgpr9
.LBB10_18:                              ;   in Loop: Header=BB10_12 Depth=1
	s_and_not1_saveexec_b32 s1, s36
	s_cbranch_execz .LBB10_20
; %bb.19:                               ;   in Loop: Header=BB10_12 Depth=1
	s_delay_alu instid0(VALU_DEP_3) | instskip(NEXT) | instid1(VALU_DEP_1)
	v_mul_hi_u32 v1, v8, v34
	v_mul_lo_u32 v5, v1, s16
	v_add_nc_u32_e32 v6, 1, v1
	s_delay_alu instid0(VALU_DEP_2) | instskip(NEXT) | instid1(VALU_DEP_1)
	v_sub_nc_u32_e32 v5, v8, v5
	v_cmp_le_u32_e32 vcc_lo, s16, v5
	s_delay_alu instid0(VALU_DEP_3) | instskip(SKIP_1) | instid1(VALU_DEP_1)
	v_cndmask_b32_e32 v1, v1, v6, vcc_lo
	v_subrev_nc_u32_e32 v7, s16, v5
	v_dual_cndmask_b32 v5, v5, v7 :: v_dual_add_nc_u32 v6, 1, v1
	s_delay_alu instid0(VALU_DEP_1) | instskip(NEXT) | instid1(VALU_DEP_2)
	v_cmp_le_u32_e32 vcc_lo, s16, v5
	v_cndmask_b32_e32 v6, v1, v6, vcc_lo
.LBB10_20:                              ;   in Loop: Header=BB10_12 Depth=1
	s_or_b32 exec_lo, exec_lo, s1
	v_add_nc_u64_e32 v[10:11], 1, v[2:3]
	s_mov_b32 s1, exec_lo
	s_delay_alu instid0(VALU_DEP_1) | instskip(NEXT) | instid1(VALU_DEP_1)
	v_mad_nc_u64_u32 v[8:9], v10, s20, -1
	v_mad_u32 v1, v11, s20, v9
	s_delay_alu instid0(VALU_DEP_1) | instskip(NEXT) | instid1(VALU_DEP_1)
	v_mad_u32 v9, v10, s21, v1
                                        ; implicit-def: $vgpr10_vgpr11
	v_or_b32_e32 v1, s17, v9
	s_delay_alu instid0(VALU_DEP_1)
	v_cmpx_ne_u64_e32 0, v[0:1]
	s_xor_b32 s36, exec_lo, s1
	s_cbranch_execnz .LBB10_23
; %bb.21:                               ;   in Loop: Header=BB10_12 Depth=1
	s_and_not1_saveexec_b32 s1, s36
	s_cbranch_execnz .LBB10_24
.LBB10_22:                              ;   in Loop: Header=BB10_12 Depth=1
	s_or_b32 exec_lo, exec_lo, s1
	s_and_saveexec_b32 s35, s0
	s_cbranch_execz .LBB10_11
	s_branch .LBB10_25
.LBB10_23:                              ;   in Loop: Header=BB10_12 Depth=1
	s_mov_b32 s35, s34
	v_dual_mov_b32 v13, v0 :: v_dual_ashrrev_i32 v10, 31, v9
	s_add_nc_u64 s[2:3], s[16:17], s[34:35]
	v_mov_b32_e32 v21, v0
	s_xor_b64 s[2:3], s[2:3], s[34:35]
	s_delay_alu instid0(VALU_DEP_2) | instskip(SKIP_3) | instid1(VALU_DEP_1)
	v_mov_b32_e32 v11, v10
	s_cvt_f32_u32 s1, s2
	s_cvt_f32_u32 s14, s3
	s_sub_nc_u64 s[40:41], 0, s[2:3]
	v_add_nc_u64_e32 v[8:9], v[8:9], v[10:11]
	s_delay_alu instid0(SALU_CYCLE_1) | instskip(SKIP_1) | instid1(SALU_CYCLE_2)
	s_fmamk_f32 s1, s14, 0x4f800000, s1
	v_mov_b32_e32 v17, v0
	v_s_rcp_f32 s1, s1
	s_delay_alu instid0(VALU_DEP_2) | instskip(NEXT) | instid1(VALU_DEP_3)
	v_xor_b32_e32 v12, v8, v10
	v_xor_b32_e32 v16, v9, v10
	s_delay_alu instid0(TRANS32_DEP_1) | instskip(NEXT) | instid1(SALU_CYCLE_3)
	s_mul_f32 s1, s1, 0x5f7ffffc
	s_mul_f32 s14, s1, 0x2f800000
	s_delay_alu instid0(SALU_CYCLE_3) | instskip(NEXT) | instid1(SALU_CYCLE_3)
	s_trunc_f32 s14, s14
	s_fmamk_f32 s1, s14, 0xcf800000, s1
	s_cvt_u32_f32 s39, s14
	s_delay_alu instid0(SALU_CYCLE_2) | instskip(NEXT) | instid1(SALU_CYCLE_3)
	s_cvt_u32_f32 s38, s1
	s_mul_u64 s[42:43], s[40:41], s[38:39]
	s_delay_alu instid0(SALU_CYCLE_1)
	s_mul_hi_u32 s45, s38, s43
	s_mul_i32 s44, s38, s43
	s_mul_hi_u32 s14, s38, s42
	s_mul_i32 s35, s39, s42
	s_add_nc_u64 s[44:45], s[14:15], s[44:45]
	s_mul_hi_u32 s1, s39, s42
	s_mul_hi_u32 s37, s39, s43
	s_add_co_u32 s14, s44, s35
	s_add_co_ci_u32 s14, s45, s1
	s_mul_i32 s42, s39, s43
	s_add_co_ci_u32 s43, s37, 0
	s_delay_alu instid0(SALU_CYCLE_1) | instskip(NEXT) | instid1(SALU_CYCLE_1)
	s_add_nc_u64 s[42:43], s[14:15], s[42:43]
	s_add_co_u32 s38, s38, s42
	s_cselect_b32 s1, -1, 0
	s_delay_alu instid0(SALU_CYCLE_1) | instskip(SKIP_1) | instid1(SALU_CYCLE_1)
	s_cmp_lg_u32 s1, 0
	s_add_co_ci_u32 s39, s39, s43
	s_mul_u64 s[40:41], s[40:41], s[38:39]
	s_delay_alu instid0(SALU_CYCLE_1)
	s_mul_hi_u32 s43, s38, s41
	s_mul_i32 s42, s38, s41
	s_mul_hi_u32 s14, s38, s40
	s_mul_i32 s35, s39, s40
	s_add_nc_u64 s[42:43], s[14:15], s[42:43]
	s_mul_hi_u32 s1, s39, s40
	s_mul_hi_u32 s37, s39, s41
	s_add_co_u32 s14, s42, s35
	s_add_co_ci_u32 s14, s43, s1
	s_mul_i32 s40, s39, s41
	s_add_co_ci_u32 s41, s37, 0
	s_delay_alu instid0(SALU_CYCLE_1) | instskip(NEXT) | instid1(SALU_CYCLE_1)
	s_add_nc_u64 s[40:41], s[14:15], s[40:41]
	s_add_co_u32 s38, s38, s40
	s_cselect_b32 s1, -1, 0
	v_mul_hi_u32 v20, v12, s38
	s_cmp_lg_u32 s1, 0
	s_add_co_ci_u32 s14, s39, s41
	s_and_b64 s[40:41], s[38:39], s[24:25]
	v_mul_u64_e32 v[14:15], s[14:15], v[12:13]
	v_mul_u64_e32 v[8:9], s[40:41], v[16:17]
	;; [unrolled: 1-line block ×3, first 2 shown]
	s_delay_alu instid0(VALU_DEP_3) | instskip(NEXT) | instid1(VALU_DEP_1)
	v_add_nc_u64_e32 v[14:15], v[20:21], v[14:15]
	v_add_co_u32 v1, vcc_lo, v14, v8
	s_delay_alu instid0(VALU_DEP_2) | instskip(NEXT) | instid1(VALU_DEP_4)
	v_add_co_ci_u32_e32 v20, vcc_lo, v15, v9, vcc_lo
	v_add_co_ci_u32_e32 v19, vcc_lo, 0, v19, vcc_lo
	s_delay_alu instid0(VALU_DEP_1) | instskip(NEXT) | instid1(VALU_DEP_1)
	v_add_nc_u64_e32 v[8:9], v[20:21], v[18:19]
	v_mul_u64_e32 v[14:15], s[2:3], v[8:9]
	s_delay_alu instid0(VALU_DEP_1) | instskip(SKIP_1) | instid1(VALU_DEP_3)
	v_sub_co_u32 v3, vcc_lo, v12, v14
	v_add_nc_u64_e32 v[12:13], 2, v[8:9]
	v_sub_nc_u32_e32 v1, v16, v15
	v_sub_co_ci_u32_e64 v7, null, v16, v15, vcc_lo
	s_delay_alu instid0(VALU_DEP_4) | instskip(NEXT) | instid1(VALU_DEP_3)
	v_sub_co_u32 v5, s1, v3, s2
	v_subrev_co_ci_u32_e64 v1, null, s3, v1, vcc_lo
	v_add_nc_u64_e32 v[14:15], 1, v[8:9]
	s_delay_alu instid0(VALU_DEP_3) | instskip(NEXT) | instid1(VALU_DEP_3)
	v_cmp_le_u32_e32 vcc_lo, s2, v5
	v_subrev_co_ci_u32_e64 v1, null, 0, v1, s1
	v_cndmask_b32_e64 v5, 0, -1, vcc_lo
	s_delay_alu instid0(VALU_DEP_2)
	v_cmp_le_u32_e32 vcc_lo, s3, v1
	v_cndmask_b32_e64 v11, 0, -1, vcc_lo
	v_cmp_le_u32_e32 vcc_lo, s2, v3
	v_cndmask_b32_e64 v3, 0, -1, vcc_lo
	;; [unrolled: 2-line block ×3, first 2 shown]
	v_cmp_eq_u32_e32 vcc_lo, s3, v1
	v_cndmask_b32_e32 v1, v11, v5, vcc_lo
	v_cmp_eq_u32_e32 vcc_lo, s3, v7
	s_delay_alu instid0(VALU_DEP_4) | instskip(NEXT) | instid1(VALU_DEP_3)
	v_cndmask_b32_e32 v3, v16, v3, vcc_lo
	v_cmp_ne_u32_e32 vcc_lo, 0, v1
	v_cndmask_b32_e32 v1, v15, v13, vcc_lo
	s_delay_alu instid0(VALU_DEP_3) | instskip(SKIP_1) | instid1(VALU_DEP_1)
	v_cmp_ne_u32_e64 s1, 0, v3
	v_dual_cndmask_b32 v3, v14, v12, vcc_lo :: v_dual_bitop2_b32 v10, s34, v10 bitop3:0x14
	v_dual_cndmask_b32 v1, v9, v1, s1 :: v_dual_cndmask_b32 v3, v8, v3, s1
	s_delay_alu instid0(VALU_DEP_1) | instskip(NEXT) | instid1(VALU_DEP_2)
	v_dual_mov_b32 v11, v10 :: v_dual_bitop2_b32 v9, v1, v10 bitop3:0x14
	v_xor_b32_e32 v8, v3, v10
	s_delay_alu instid0(VALU_DEP_1)
	v_sub_nc_u64_e32 v[10:11], v[8:9], v[10:11]
                                        ; implicit-def: $vgpr8_vgpr9
	s_and_not1_saveexec_b32 s1, s36
	s_cbranch_execz .LBB10_22
.LBB10_24:                              ;   in Loop: Header=BB10_12 Depth=1
	v_mul_hi_u32 v1, v8, v34
	s_delay_alu instid0(VALU_DEP_1) | instskip(NEXT) | instid1(VALU_DEP_1)
	v_mul_lo_u32 v3, v1, s16
	v_dual_add_nc_u32 v5, 1, v1 :: v_dual_sub_nc_u32 v3, v8, v3
	s_delay_alu instid0(VALU_DEP_1) | instskip(SKIP_1) | instid1(VALU_DEP_2)
	v_subrev_nc_u32_e32 v7, s16, v3
	v_cmp_le_u32_e32 vcc_lo, s16, v3
	v_dual_cndmask_b32 v3, v3, v7, vcc_lo :: v_dual_cndmask_b32 v1, v1, v5, vcc_lo
	s_delay_alu instid0(VALU_DEP_1) | instskip(NEXT) | instid1(VALU_DEP_2)
	v_cmp_le_u32_e32 vcc_lo, s16, v3
	v_add_nc_u32_e32 v5, 1, v1
	s_delay_alu instid0(VALU_DEP_1)
	v_cndmask_b32_e32 v10, v1, v5, vcc_lo
	s_or_b32 exec_lo, exec_lo, s1
	s_and_saveexec_b32 s35, s0
	s_cbranch_execz .LBB10_11
.LBB10_25:                              ;   in Loop: Header=BB10_12 Depth=1
	v_mul_lo_u32 v8, v2, s6
	v_mad_u32 v3, v4, s20, v6
	v_mad_u32 v36, s8, v4, v6
	v_dual_mov_b32 v6, v32 :: v_dual_add_nc_u32 v35, 1, v10
	s_mov_b32 s55, 0
	s_delay_alu instid0(VALU_DEP_4) | instskip(NEXT) | instid1(VALU_DEP_2)
	v_ashrrev_i32_e32 v9, 31, v8
	v_cmp_gt_i32_e64 s1, v35, v3
	s_delay_alu instid0(VALU_DEP_2)
	v_lshl_add_u64 v[4:5], v[8:9], 1, s[26:27]
	s_branch .LBB10_27
.LBB10_26:                              ;   in Loop: Header=BB10_27 Depth=2
	v_add_nc_u32_e32 v6, s7, v6
	s_delay_alu instid0(VALU_DEP_1) | instskip(SKIP_1) | instid1(SALU_CYCLE_1)
	v_cmp_le_i32_e32 vcc_lo, s6, v6
	s_or_b32 s55, vcc_lo, s55
	s_and_not1_b32 exec_lo, exec_lo, s55
	s_cbranch_execz .LBB10_11
.LBB10_27:                              ;   Parent Loop BB10_12 Depth=1
                                        ; =>  This Loop Header: Depth=2
                                        ;       Child Loop BB10_42 Depth 3
                                        ;         Child Loop BB10_54 Depth 4
                                        ;           Child Loop BB10_69 Depth 5
	s_mov_b32 s2, s15
	s_mov_b32 s3, s19
	v_mov_b32_e32 v7, v0
	s_cmp_lg_u64 s[2:3], 0
                                        ; implicit-def: $vgpr12_vgpr13
	s_cselect_b32 s2, -1, 0
	s_delay_alu instid0(SALU_CYCLE_1) | instskip(NEXT) | instid1(SALU_CYCLE_1)
	s_and_saveexec_b32 s3, s2
	s_xor_b32 s3, exec_lo, s3
	s_cbranch_execz .LBB10_29
; %bb.28:                               ;   in Loop: Header=BB10_27 Depth=2
	s_ashr_i32 s36, s19, 31
	v_add_nc_u64_e32 v[8:9], 0, v[6:7]
	s_mov_b32 s37, s36
	v_mov_b32_e32 v11, v0
	s_add_nc_u64 s[38:39], s[18:19], s[36:37]
	v_mov_b32_e32 v13, v0
	s_xor_b64 s[38:39], s[38:39], s[36:37]
	v_mov_b32_e32 v17, v0
	s_cvt_f32_u32 s2, s38
	s_cvt_f32_u32 s14, s39
	s_sub_nc_u64 s[42:43], 0, s[38:39]
	v_dual_mov_b32 v10, v8 :: v_dual_mov_b32 v12, v9
	s_delay_alu instid0(SALU_CYCLE_1) | instskip(NEXT) | instid1(SALU_CYCLE_3)
	s_fmamk_f32 s2, s14, 0x4f800000, s2
	v_s_rcp_f32 s2, s2
	s_delay_alu instid0(TRANS32_DEP_1) | instskip(NEXT) | instid1(SALU_CYCLE_3)
	s_mul_f32 s2, s2, 0x5f7ffffc
	s_mul_f32 s14, s2, 0x2f800000
	s_delay_alu instid0(SALU_CYCLE_3) | instskip(NEXT) | instid1(SALU_CYCLE_3)
	s_trunc_f32 s14, s14
	s_fmamk_f32 s2, s14, 0xcf800000, s2
	s_cvt_u32_f32 s41, s14
	s_delay_alu instid0(SALU_CYCLE_2) | instskip(NEXT) | instid1(SALU_CYCLE_3)
	s_cvt_u32_f32 s40, s2
	s_mul_u64 s[44:45], s[42:43], s[40:41]
	s_delay_alu instid0(SALU_CYCLE_1)
	s_mul_hi_u32 s47, s40, s45
	s_mul_i32 s46, s40, s45
	s_mul_hi_u32 s14, s40, s44
	s_mul_i32 s37, s41, s44
	s_add_nc_u64 s[46:47], s[14:15], s[46:47]
	s_mul_hi_u32 s2, s41, s44
	s_mul_hi_u32 s48, s41, s45
	s_add_co_u32 s14, s46, s37
	s_add_co_ci_u32 s14, s47, s2
	s_mul_i32 s44, s41, s45
	s_add_co_ci_u32 s45, s48, 0
	s_delay_alu instid0(SALU_CYCLE_1) | instskip(NEXT) | instid1(SALU_CYCLE_1)
	s_add_nc_u64 s[44:45], s[14:15], s[44:45]
	s_add_co_u32 s40, s40, s44
	s_cselect_b32 s2, -1, 0
	s_delay_alu instid0(SALU_CYCLE_1) | instskip(SKIP_1) | instid1(SALU_CYCLE_1)
	s_cmp_lg_u32 s2, 0
	s_add_co_ci_u32 s41, s41, s45
	s_mul_u64 s[42:43], s[42:43], s[40:41]
	s_delay_alu instid0(SALU_CYCLE_1)
	s_mul_hi_u32 s45, s40, s43
	s_mul_i32 s44, s40, s43
	s_mul_hi_u32 s14, s40, s42
	s_mul_i32 s37, s41, s42
	s_add_nc_u64 s[44:45], s[14:15], s[44:45]
	s_mul_hi_u32 s2, s41, s42
	s_mul_hi_u32 s46, s41, s43
	s_add_co_u32 s14, s44, s37
	s_add_co_ci_u32 s14, s45, s2
	s_mul_i32 s42, s41, s43
	s_add_co_ci_u32 s43, s46, 0
	s_delay_alu instid0(SALU_CYCLE_1) | instskip(NEXT) | instid1(SALU_CYCLE_1)
	s_add_nc_u64 s[42:43], s[14:15], s[42:43]
	s_add_co_u32 s2, s40, s42
	s_cselect_b32 s14, -1, 0
	v_nop
	v_mul_hi_u32 v16, v8, s2
	s_cmp_lg_u32 s14, 0
	s_add_co_ci_u32 s14, s41, s43
	s_and_b64 s[40:41], s[2:3], s[24:25]
	v_mul_u64_e32 v[10:11], s[14:15], v[10:11]
	v_mul_u64_e32 v[14:15], s[40:41], v[12:13]
	;; [unrolled: 1-line block ×3, first 2 shown]
	s_delay_alu instid0(VALU_DEP_3) | instskip(NEXT) | instid1(VALU_DEP_1)
	v_add_nc_u64_e32 v[10:11], v[16:17], v[10:11]
	v_add_co_u32 v1, vcc_lo, v10, v14
	s_delay_alu instid0(VALU_DEP_2) | instskip(NEXT) | instid1(VALU_DEP_4)
	v_add_co_ci_u32_e32 v16, vcc_lo, v11, v15, vcc_lo
	v_add_co_ci_u32_e32 v13, vcc_lo, 0, v13, vcc_lo
	s_delay_alu instid0(VALU_DEP_1) | instskip(NEXT) | instid1(VALU_DEP_1)
	v_add_nc_u64_e32 v[10:11], v[16:17], v[12:13]
	v_mul_u64_e32 v[12:13], s[38:39], v[10:11]
	v_add_nc_u64_e32 v[14:15], 2, v[10:11]
	s_delay_alu instid0(VALU_DEP_2) | instskip(NEXT) | instid1(VALU_DEP_3)
	v_sub_nc_u32_e32 v1, v9, v13
	v_sub_co_u32 v8, vcc_lo, v8, v12
	s_delay_alu instid0(VALU_DEP_1) | instskip(NEXT) | instid1(VALU_DEP_3)
	v_sub_co_ci_u32_e64 v13, null, v9, v13, vcc_lo
	v_subrev_co_ci_u32_e64 v1, null, s39, v1, vcc_lo
	s_delay_alu instid0(VALU_DEP_3) | instskip(SKIP_1) | instid1(VALU_DEP_3)
	v_sub_co_u32 v12, s2, v8, s38
	v_cmp_le_u32_e32 vcc_lo, s38, v8
	v_subrev_co_ci_u32_e64 v1, null, 0, v1, s2
	s_delay_alu instid0(VALU_DEP_3) | instskip(SKIP_2) | instid1(VALU_DEP_4)
	v_cmp_le_u32_e64 s2, s38, v12
	v_add_nc_u64_e32 v[8:9], 1, v[10:11]
	v_cndmask_b32_e64 v17, 0, -1, vcc_lo
	v_cmp_eq_u32_e32 vcc_lo, s39, v1
	s_delay_alu instid0(VALU_DEP_4) | instskip(SKIP_1) | instid1(VALU_DEP_1)
	v_cndmask_b32_e64 v12, 0, -1, s2
	v_cmp_le_u32_e64 s2, s39, v1
	v_cndmask_b32_e64 v16, 0, -1, s2
	v_cmp_eq_u32_e64 s2, s39, v13
	s_delay_alu instid0(VALU_DEP_2) | instskip(SKIP_2) | instid1(VALU_DEP_3)
	v_cndmask_b32_e32 v1, v16, v12, vcc_lo
	v_cmp_le_u32_e32 vcc_lo, s39, v13
	v_cndmask_b32_e64 v12, 0, -1, vcc_lo
	v_cmp_ne_u32_e32 vcc_lo, 0, v1
	v_dual_cndmask_b32 v9, v9, v15 :: v_dual_cndmask_b32 v8, v8, v14
	s_delay_alu instid0(VALU_DEP_3) | instskip(NEXT) | instid1(VALU_DEP_1)
	v_cndmask_b32_e64 v1, v12, v17, s2
	v_cmp_ne_u32_e32 vcc_lo, 0, v1
	s_delay_alu instid0(VALU_DEP_3) | instskip(SKIP_1) | instid1(VALU_DEP_2)
	v_dual_cndmask_b32 v1, v11, v9 :: v_dual_cndmask_b32 v10, v10, v8
	v_dual_mov_b32 v9, s36 :: v_dual_mov_b32 v8, s36
	v_xor_b32_e32 v11, s36, v1
	s_delay_alu instid0(VALU_DEP_3) | instskip(NEXT) | instid1(VALU_DEP_1)
	v_xor_b32_e32 v10, s36, v10
	v_sub_nc_u64_e32 v[12:13], v[10:11], v[8:9]
.LBB10_29:                              ;   in Loop: Header=BB10_27 Depth=2
	s_or_saveexec_b32 s2, s3
	v_cvt_f32_u32_e32 v10, s18
	s_xor_b32 exec_lo, exec_lo, s2
	s_cbranch_execz .LBB10_31
; %bb.30:                               ;   in Loop: Header=BB10_27 Depth=2
	s_delay_alu instid0(VALU_DEP_1) | instskip(SKIP_2) | instid1(TRANS32_DEP_1)
	v_rcp_iflag_f32_e32 v1, v10
	s_sub_co_i32 s3, 0, s18
	v_mov_b32_e32 v13, v0
	v_mul_f32_e32 v1, 0x4f7ffffe, v1
	s_delay_alu instid0(VALU_DEP_1) | instskip(NEXT) | instid1(VALU_DEP_1)
	v_cvt_u32_f32_e32 v1, v1
	v_mul_lo_u32 v8, s3, v1
	s_delay_alu instid0(VALU_DEP_1) | instskip(NEXT) | instid1(VALU_DEP_1)
	v_mul_hi_u32 v8, v1, v8
	v_add_nc_u32_e32 v1, v1, v8
	s_delay_alu instid0(VALU_DEP_1) | instskip(NEXT) | instid1(VALU_DEP_1)
	v_mul_hi_u32 v1, v6, v1
	v_mul_lo_u32 v8, v1, s18
	s_delay_alu instid0(VALU_DEP_1) | instskip(NEXT) | instid1(VALU_DEP_1)
	v_dual_add_nc_u32 v9, 1, v1 :: v_dual_sub_nc_u32 v8, v6, v8
	v_subrev_nc_u32_e32 v11, s18, v8
	v_cmp_le_u32_e32 vcc_lo, s18, v8
	s_delay_alu instid0(VALU_DEP_2) | instskip(NEXT) | instid1(VALU_DEP_1)
	v_dual_cndmask_b32 v8, v8, v11 :: v_dual_cndmask_b32 v1, v1, v9
	v_cmp_le_u32_e32 vcc_lo, s18, v8
	s_delay_alu instid0(VALU_DEP_2) | instskip(NEXT) | instid1(VALU_DEP_1)
	v_add_nc_u32_e32 v9, 1, v1
	v_cndmask_b32_e32 v12, v1, v9, vcc_lo
.LBB10_31:                              ;   in Loop: Header=BB10_27 Depth=2
	s_or_b32 exec_lo, exec_lo, s2
	s_delay_alu instid0(VALU_DEP_1) | instskip(SKIP_1) | instid1(VALU_DEP_1)
	v_mul_u64_e32 v[8:9], s[18:19], v[12:13]
                                        ; implicit-def: $vgpr14_vgpr15
	s_mov_b32 s2, exec_lo
	v_sub_nc_u64_e32 v[8:9], v[6:7], v[8:9]
	s_delay_alu instid0(VALU_DEP_1) | instskip(NEXT) | instid1(VALU_DEP_1)
	v_mul_u64_e32 v[8:9], s[22:23], v[8:9]
	v_or_b32_e32 v1, s19, v9
	s_delay_alu instid0(VALU_DEP_1)
	v_cmpx_ne_u64_e32 0, v[0:1]
	s_xor_b32 s3, exec_lo, s2
	s_cbranch_execz .LBB10_33
; %bb.32:                               ;   in Loop: Header=BB10_27 Depth=2
	s_ashr_i32 s36, s19, 31
	v_dual_mov_b32 v17, v0 :: v_dual_ashrrev_i32 v14, 31, v9
	s_mov_b32 s37, s36
	v_mov_b32_e32 v25, v0
	s_add_nc_u64 s[38:39], s[18:19], s[36:37]
	s_delay_alu instid0(VALU_DEP_2) | instskip(SKIP_1) | instid1(SALU_CYCLE_1)
	v_mov_b32_e32 v15, v14
	s_xor_b64 s[38:39], s[38:39], s[36:37]
	s_cvt_f32_u32 s2, s38
	s_cvt_f32_u32 s14, s39
	s_sub_nc_u64 s[42:43], 0, s[38:39]
	v_add_nc_u64_e32 v[8:9], v[8:9], v[14:15]
	v_mov_b32_e32 v21, v0
	s_fmamk_f32 s2, s14, 0x4f800000, s2
	s_delay_alu instid0(SALU_CYCLE_3) | instskip(NEXT) | instid1(VALU_DEP_2)
	v_s_rcp_f32 s2, s2
	v_xor_b32_e32 v16, v8, v14
	s_delay_alu instid0(VALU_DEP_3) | instskip(SKIP_1) | instid1(TRANS32_DEP_1)
	v_xor_b32_e32 v20, v9, v14
	v_xor_b32_e32 v14, s36, v14
	s_mul_f32 s2, s2, 0x5f7ffffc
	s_delay_alu instid0(SALU_CYCLE_3) | instskip(NEXT) | instid1(SALU_CYCLE_3)
	s_mul_f32 s14, s2, 0x2f800000
	s_trunc_f32 s14, s14
	s_delay_alu instid0(SALU_CYCLE_3) | instskip(SKIP_1) | instid1(SALU_CYCLE_2)
	s_fmamk_f32 s2, s14, 0xcf800000, s2
	s_cvt_u32_f32 s41, s14
	s_cvt_u32_f32 s40, s2
	s_delay_alu instid0(SALU_CYCLE_3) | instskip(NEXT) | instid1(SALU_CYCLE_1)
	s_mul_u64 s[44:45], s[42:43], s[40:41]
	s_mul_hi_u32 s47, s40, s45
	s_mul_i32 s46, s40, s45
	s_mul_hi_u32 s14, s40, s44
	s_mul_i32 s37, s41, s44
	s_add_nc_u64 s[46:47], s[14:15], s[46:47]
	s_mul_hi_u32 s2, s41, s44
	s_mul_hi_u32 s48, s41, s45
	s_add_co_u32 s14, s46, s37
	s_add_co_ci_u32 s14, s47, s2
	s_mul_i32 s44, s41, s45
	s_add_co_ci_u32 s45, s48, 0
	s_delay_alu instid0(SALU_CYCLE_1) | instskip(NEXT) | instid1(SALU_CYCLE_1)
	s_add_nc_u64 s[44:45], s[14:15], s[44:45]
	s_add_co_u32 s40, s40, s44
	s_cselect_b32 s2, -1, 0
	s_delay_alu instid0(SALU_CYCLE_1) | instskip(SKIP_1) | instid1(SALU_CYCLE_1)
	s_cmp_lg_u32 s2, 0
	s_add_co_ci_u32 s41, s41, s45
	s_mul_u64 s[42:43], s[42:43], s[40:41]
	s_delay_alu instid0(SALU_CYCLE_1)
	s_mul_hi_u32 s45, s40, s43
	s_mul_i32 s44, s40, s43
	s_mul_hi_u32 s14, s40, s42
	s_mul_i32 s37, s41, s42
	s_add_nc_u64 s[44:45], s[14:15], s[44:45]
	s_mul_hi_u32 s2, s41, s42
	s_mul_hi_u32 s46, s41, s43
	s_add_co_u32 s14, s44, s37
	s_add_co_ci_u32 s14, s45, s2
	s_mul_i32 s42, s41, s43
	s_add_co_ci_u32 s43, s46, 0
	s_delay_alu instid0(SALU_CYCLE_1) | instskip(NEXT) | instid1(SALU_CYCLE_1)
	s_add_nc_u64 s[42:43], s[14:15], s[42:43]
	s_add_co_u32 s2, s40, s42
	s_cselect_b32 s14, -1, 0
	v_mul_hi_u32 v24, v16, s2
	s_cmp_lg_u32 s14, 0
	s_add_co_ci_u32 s14, s41, s43
	s_and_b64 s[40:41], s[2:3], s[24:25]
	v_mul_u64_e32 v[18:19], s[14:15], v[16:17]
	v_mul_u64_e32 v[8:9], s[40:41], v[20:21]
	;; [unrolled: 1-line block ×3, first 2 shown]
	s_delay_alu instid0(VALU_DEP_3) | instskip(NEXT) | instid1(VALU_DEP_1)
	v_add_nc_u64_e32 v[18:19], v[24:25], v[18:19]
	v_add_co_u32 v1, vcc_lo, v18, v8
	s_delay_alu instid0(VALU_DEP_2) | instskip(NEXT) | instid1(VALU_DEP_4)
	v_add_co_ci_u32_e32 v24, vcc_lo, v19, v9, vcc_lo
	v_add_co_ci_u32_e32 v23, vcc_lo, 0, v23, vcc_lo
	s_delay_alu instid0(VALU_DEP_1) | instskip(NEXT) | instid1(VALU_DEP_1)
	v_add_nc_u64_e32 v[8:9], v[24:25], v[22:23]
	v_mul_u64_e32 v[18:19], s[38:39], v[8:9]
	s_delay_alu instid0(VALU_DEP_1) | instskip(NEXT) | instid1(VALU_DEP_2)
	v_sub_nc_u32_e32 v1, v20, v19
	v_sub_co_u32 v11, vcc_lo, v16, v18
	s_delay_alu instid0(VALU_DEP_1) | instskip(NEXT) | instid1(VALU_DEP_3)
	v_sub_co_ci_u32_e64 v15, null, v20, v19, vcc_lo
	v_subrev_co_ci_u32_e64 v1, null, s39, v1, vcc_lo
	s_delay_alu instid0(VALU_DEP_3) | instskip(SKIP_1) | instid1(VALU_DEP_3)
	v_sub_co_u32 v13, s2, v11, s38
	v_add_nc_u64_e32 v[18:19], 1, v[8:9]
	v_subrev_co_ci_u32_e64 v1, null, 0, v1, s2
	s_delay_alu instid0(VALU_DEP_3) | instskip(SKIP_1) | instid1(VALU_DEP_3)
	v_cmp_le_u32_e32 vcc_lo, s38, v13
	v_cndmask_b32_e64 v13, 0, -1, vcc_lo
	v_cmp_le_u32_e32 vcc_lo, s39, v1
	v_cndmask_b32_e64 v16, 0, -1, vcc_lo
	;; [unrolled: 2-line block ×4, first 2 shown]
	v_cmp_eq_u32_e32 vcc_lo, s39, v1
	v_cndmask_b32_e32 v1, v16, v13, vcc_lo
	v_cmp_eq_u32_e32 vcc_lo, s39, v15
	v_add_nc_u64_e32 v[16:17], 2, v[8:9]
	v_dual_mov_b32 v15, v14 :: v_dual_cndmask_b32 v11, v20, v11, vcc_lo
	s_delay_alu instid0(VALU_DEP_4) | instskip(NEXT) | instid1(VALU_DEP_2)
	v_cmp_ne_u32_e32 vcc_lo, 0, v1
	v_cmp_ne_u32_e64 s2, 0, v11
	s_delay_alu instid0(VALU_DEP_4) | instskip(NEXT) | instid1(VALU_DEP_1)
	v_dual_cndmask_b32 v1, v19, v17, vcc_lo :: v_dual_cndmask_b32 v11, v18, v16, vcc_lo
	v_dual_cndmask_b32 v1, v9, v1, s2 :: v_dual_cndmask_b32 v8, v8, v11, s2
	s_delay_alu instid0(VALU_DEP_1) | instskip(NEXT) | instid1(VALU_DEP_2)
	v_xor_b32_e32 v9, v1, v14
	v_xor_b32_e32 v8, v8, v14
	s_delay_alu instid0(VALU_DEP_1)
	v_sub_nc_u64_e32 v[14:15], v[8:9], v[14:15]
                                        ; implicit-def: $vgpr8_vgpr9
.LBB10_33:                              ;   in Loop: Header=BB10_27 Depth=2
	s_and_not1_saveexec_b32 s2, s3
	s_cbranch_execz .LBB10_35
; %bb.34:                               ;   in Loop: Header=BB10_27 Depth=2
	v_rcp_iflag_f32_e32 v1, v10
	s_sub_co_i32 s3, 0, s18
	v_nop
	s_delay_alu instid0(TRANS32_DEP_1) | instskip(NEXT) | instid1(VALU_DEP_1)
	v_mul_f32_e32 v1, 0x4f7ffffe, v1
	v_cvt_u32_f32_e32 v1, v1
	s_delay_alu instid0(VALU_DEP_1) | instskip(NEXT) | instid1(VALU_DEP_1)
	v_mul_lo_u32 v9, s3, v1
	v_mul_hi_u32 v9, v1, v9
	s_delay_alu instid0(VALU_DEP_1) | instskip(NEXT) | instid1(VALU_DEP_1)
	v_add_nc_u32_e32 v1, v1, v9
	v_mul_hi_u32 v1, v8, v1
	s_delay_alu instid0(VALU_DEP_1) | instskip(NEXT) | instid1(VALU_DEP_1)
	v_mul_lo_u32 v9, v1, s18
	v_sub_nc_u32_e32 v8, v8, v9
	v_add_nc_u32_e32 v9, 1, v1
	s_delay_alu instid0(VALU_DEP_2) | instskip(SKIP_1) | instid1(VALU_DEP_2)
	v_subrev_nc_u32_e32 v11, s18, v8
	v_cmp_le_u32_e32 vcc_lo, s18, v8
	v_dual_cndmask_b32 v8, v8, v11 :: v_dual_cndmask_b32 v1, v1, v9
	s_delay_alu instid0(VALU_DEP_1) | instskip(NEXT) | instid1(VALU_DEP_2)
	v_cmp_le_u32_e32 vcc_lo, s18, v8
	v_add_nc_u32_e32 v9, 1, v1
	s_delay_alu instid0(VALU_DEP_1)
	v_cndmask_b32_e32 v14, v1, v9, vcc_lo
.LBB10_35:                              ;   in Loop: Header=BB10_27 Depth=2
	s_or_b32 exec_lo, exec_lo, s2
	v_add_nc_u32_e32 v1, 1, v6
                                        ; implicit-def: $vgpr16_vgpr17
	s_mov_b32 s2, exec_lo
	s_delay_alu instid0(VALU_DEP_1) | instskip(NEXT) | instid1(VALU_DEP_1)
	v_mad_nc_u64_u32 v[8:9], v1, s22, -1
	v_mad_u32 v9, v1, s23, v9
	s_delay_alu instid0(VALU_DEP_1) | instskip(NEXT) | instid1(VALU_DEP_1)
	v_or_b32_e32 v1, s19, v9
	v_cmpx_ne_u64_e32 0, v[0:1]
	s_xor_b32 s3, exec_lo, s2
	s_cbranch_execnz .LBB10_38
; %bb.36:                               ;   in Loop: Header=BB10_27 Depth=2
	s_and_not1_saveexec_b32 s2, s3
	s_cbranch_execnz .LBB10_39
.LBB10_37:                              ;   in Loop: Header=BB10_27 Depth=2
	s_or_b32 exec_lo, exec_lo, s2
	s_delay_alu instid0(SALU_CYCLE_1)
	s_and_not1_b32 vcc_lo, exec_lo, s50
	s_cbranch_vccnz .LBB10_26
	s_branch .LBB10_40
.LBB10_38:                              ;   in Loop: Header=BB10_27 Depth=2
	s_ashr_i32 s36, s19, 31
	v_dual_mov_b32 v17, v0 :: v_dual_ashrrev_i32 v10, 31, v9
	s_mov_b32 s37, s36
	v_mov_b32_e32 v25, v0
	s_add_nc_u64 s[38:39], s[18:19], s[36:37]
	s_delay_alu instid0(VALU_DEP_2) | instskip(SKIP_1) | instid1(SALU_CYCLE_1)
	v_mov_b32_e32 v11, v10
	s_xor_b64 s[38:39], s[38:39], s[36:37]
	s_cvt_f32_u32 s2, s38
	s_cvt_f32_u32 s14, s39
	s_sub_nc_u64 s[42:43], 0, s[38:39]
	v_add_nc_u64_e32 v[8:9], v[8:9], v[10:11]
	v_mov_b32_e32 v21, v0
	s_fmamk_f32 s2, s14, 0x4f800000, s2
	s_delay_alu instid0(SALU_CYCLE_3) | instskip(NEXT) | instid1(VALU_DEP_2)
	v_s_rcp_f32 s2, s2
	v_xor_b32_e32 v16, v8, v10
	s_delay_alu instid0(VALU_DEP_3) | instskip(SKIP_1) | instid1(TRANS32_DEP_1)
	v_xor_b32_e32 v20, v9, v10
	v_xor_b32_e32 v10, s36, v10
	s_mul_f32 s2, s2, 0x5f7ffffc
	s_delay_alu instid0(SALU_CYCLE_3) | instskip(NEXT) | instid1(SALU_CYCLE_3)
	s_mul_f32 s14, s2, 0x2f800000
	s_trunc_f32 s14, s14
	s_delay_alu instid0(SALU_CYCLE_3) | instskip(SKIP_1) | instid1(SALU_CYCLE_2)
	s_fmamk_f32 s2, s14, 0xcf800000, s2
	s_cvt_u32_f32 s41, s14
	s_cvt_u32_f32 s40, s2
	s_delay_alu instid0(SALU_CYCLE_3) | instskip(NEXT) | instid1(SALU_CYCLE_1)
	s_mul_u64 s[44:45], s[42:43], s[40:41]
	s_mul_hi_u32 s47, s40, s45
	s_mul_i32 s46, s40, s45
	s_mul_hi_u32 s14, s40, s44
	s_mul_i32 s37, s41, s44
	s_add_nc_u64 s[46:47], s[14:15], s[46:47]
	s_mul_hi_u32 s2, s41, s44
	s_mul_hi_u32 s48, s41, s45
	s_add_co_u32 s14, s46, s37
	s_add_co_ci_u32 s14, s47, s2
	s_mul_i32 s44, s41, s45
	s_add_co_ci_u32 s45, s48, 0
	s_delay_alu instid0(SALU_CYCLE_1) | instskip(NEXT) | instid1(SALU_CYCLE_1)
	s_add_nc_u64 s[44:45], s[14:15], s[44:45]
	s_add_co_u32 s40, s40, s44
	s_cselect_b32 s2, -1, 0
	s_delay_alu instid0(SALU_CYCLE_1) | instskip(SKIP_1) | instid1(SALU_CYCLE_1)
	s_cmp_lg_u32 s2, 0
	s_add_co_ci_u32 s41, s41, s45
	s_mul_u64 s[42:43], s[42:43], s[40:41]
	s_delay_alu instid0(SALU_CYCLE_1)
	s_mul_hi_u32 s45, s40, s43
	s_mul_i32 s44, s40, s43
	s_mul_hi_u32 s14, s40, s42
	s_mul_i32 s37, s41, s42
	s_add_nc_u64 s[44:45], s[14:15], s[44:45]
	s_mul_hi_u32 s2, s41, s42
	s_mul_hi_u32 s46, s41, s43
	s_add_co_u32 s14, s44, s37
	s_add_co_ci_u32 s14, s45, s2
	s_mul_i32 s42, s41, s43
	s_add_co_ci_u32 s43, s46, 0
	s_delay_alu instid0(SALU_CYCLE_1) | instskip(NEXT) | instid1(SALU_CYCLE_1)
	s_add_nc_u64 s[42:43], s[14:15], s[42:43]
	s_add_co_u32 s2, s40, s42
	s_cselect_b32 s14, -1, 0
	v_mul_hi_u32 v24, v16, s2
	s_cmp_lg_u32 s14, 0
	s_add_co_ci_u32 s14, s41, s43
	s_and_b64 s[40:41], s[2:3], s[24:25]
	v_mul_u64_e32 v[18:19], s[14:15], v[16:17]
	v_mul_u64_e32 v[8:9], s[40:41], v[20:21]
	;; [unrolled: 1-line block ×3, first 2 shown]
	s_delay_alu instid0(VALU_DEP_3) | instskip(NEXT) | instid1(VALU_DEP_1)
	v_add_nc_u64_e32 v[18:19], v[24:25], v[18:19]
	v_add_co_u32 v1, vcc_lo, v18, v8
	s_delay_alu instid0(VALU_DEP_2) | instskip(NEXT) | instid1(VALU_DEP_4)
	v_add_co_ci_u32_e32 v24, vcc_lo, v19, v9, vcc_lo
	v_add_co_ci_u32_e32 v23, vcc_lo, 0, v23, vcc_lo
	s_delay_alu instid0(VALU_DEP_1) | instskip(NEXT) | instid1(VALU_DEP_1)
	v_add_nc_u64_e32 v[8:9], v[24:25], v[22:23]
	v_mul_u64_e32 v[18:19], s[38:39], v[8:9]
	s_delay_alu instid0(VALU_DEP_1) | instskip(NEXT) | instid1(VALU_DEP_2)
	v_sub_nc_u32_e32 v1, v20, v19
	v_sub_co_u32 v11, vcc_lo, v16, v18
	s_delay_alu instid0(VALU_DEP_1) | instskip(NEXT) | instid1(VALU_DEP_3)
	v_sub_co_ci_u32_e64 v15, null, v20, v19, vcc_lo
	v_subrev_co_ci_u32_e64 v1, null, s39, v1, vcc_lo
	s_delay_alu instid0(VALU_DEP_3) | instskip(SKIP_1) | instid1(VALU_DEP_3)
	v_sub_co_u32 v13, s2, v11, s38
	v_add_nc_u64_e32 v[18:19], 1, v[8:9]
	v_subrev_co_ci_u32_e64 v1, null, 0, v1, s2
	s_delay_alu instid0(VALU_DEP_3) | instskip(SKIP_1) | instid1(VALU_DEP_3)
	v_cmp_le_u32_e32 vcc_lo, s38, v13
	v_cndmask_b32_e64 v13, 0, -1, vcc_lo
	v_cmp_le_u32_e32 vcc_lo, s39, v1
	v_cndmask_b32_e64 v16, 0, -1, vcc_lo
	;; [unrolled: 2-line block ×4, first 2 shown]
	v_cmp_eq_u32_e32 vcc_lo, s39, v1
	v_cndmask_b32_e32 v1, v16, v13, vcc_lo
	v_cmp_eq_u32_e32 vcc_lo, s39, v15
	v_add_nc_u64_e32 v[16:17], 2, v[8:9]
	v_cndmask_b32_e32 v11, v20, v11, vcc_lo
	s_delay_alu instid0(VALU_DEP_4) | instskip(NEXT) | instid1(VALU_DEP_2)
	v_cmp_ne_u32_e32 vcc_lo, 0, v1
	v_cmp_ne_u32_e64 s2, 0, v11
	s_delay_alu instid0(VALU_DEP_4) | instskip(NEXT) | instid1(VALU_DEP_1)
	v_dual_cndmask_b32 v1, v19, v17, vcc_lo :: v_dual_cndmask_b32 v11, v18, v16, vcc_lo
	v_dual_cndmask_b32 v1, v9, v1, s2 :: v_dual_cndmask_b32 v8, v8, v11, s2
	s_delay_alu instid0(VALU_DEP_1) | instskip(NEXT) | instid1(VALU_DEP_2)
	v_dual_mov_b32 v11, v10 :: v_dual_bitop2_b32 v9, v1, v10 bitop3:0x14
	v_xor_b32_e32 v8, v8, v10
	s_delay_alu instid0(VALU_DEP_1)
	v_sub_nc_u64_e32 v[16:17], v[8:9], v[10:11]
                                        ; implicit-def: $vgpr10
                                        ; implicit-def: $vgpr8_vgpr9
	s_and_not1_saveexec_b32 s2, s3
	s_cbranch_execz .LBB10_37
.LBB10_39:                              ;   in Loop: Header=BB10_27 Depth=2
	v_rcp_iflag_f32_e32 v1, v10
	s_sub_co_i32 s3, 0, s18
	v_nop
	s_delay_alu instid0(TRANS32_DEP_1) | instskip(NEXT) | instid1(VALU_DEP_1)
	v_mul_f32_e32 v1, 0x4f7ffffe, v1
	v_cvt_u32_f32_e32 v1, v1
	s_delay_alu instid0(VALU_DEP_1) | instskip(NEXT) | instid1(VALU_DEP_1)
	v_mul_lo_u32 v9, s3, v1
	v_mul_hi_u32 v9, v1, v9
	s_delay_alu instid0(VALU_DEP_1) | instskip(NEXT) | instid1(VALU_DEP_1)
	v_add_nc_u32_e32 v1, v1, v9
	v_mul_hi_u32 v1, v8, v1
	s_delay_alu instid0(VALU_DEP_1) | instskip(NEXT) | instid1(VALU_DEP_1)
	v_mul_lo_u32 v9, v1, s18
	v_sub_nc_u32_e32 v8, v8, v9
	v_add_nc_u32_e32 v9, 1, v1
	s_delay_alu instid0(VALU_DEP_2) | instskip(SKIP_1) | instid1(VALU_DEP_2)
	v_subrev_nc_u32_e32 v10, s18, v8
	v_cmp_le_u32_e32 vcc_lo, s18, v8
	v_dual_cndmask_b32 v8, v8, v10 :: v_dual_cndmask_b32 v1, v1, v9
	s_delay_alu instid0(VALU_DEP_1) | instskip(NEXT) | instid1(VALU_DEP_2)
	v_cmp_le_u32_e32 vcc_lo, s18, v8
	v_add_nc_u32_e32 v9, 1, v1
	s_delay_alu instid0(VALU_DEP_1) | instskip(SKIP_1) | instid1(SALU_CYCLE_1)
	v_cndmask_b32_e32 v16, v1, v9, vcc_lo
	s_or_b32 exec_lo, exec_lo, s2
	s_and_not1_b32 vcc_lo, exec_lo, s50
	s_cbranch_vccnz .LBB10_26
.LBB10_40:                              ;   in Loop: Header=BB10_27 Depth=2
	v_mad_u32 v8, v12, s22, v14
	v_add_nc_u32_e32 v38, 1, v16
	s_mov_b64 s[36:37], s[28:29]
	s_mov_b32 s38, s4
	s_delay_alu instid0(VALU_DEP_2) | instskip(NEXT) | instid1(VALU_DEP_2)
	v_ashrrev_i32_e32 v9, 31, v8
	v_cmp_gt_i32_e64 s2, v38, v8
	s_delay_alu instid0(VALU_DEP_2) | instskip(NEXT) | instid1(VALU_DEP_1)
	v_add_nc_u64_e32 v[18:19], 1, v[8:9]
	v_mad_nc_u64_u32 v[10:11], s18, v18, -1
	s_delay_alu instid0(VALU_DEP_1) | instskip(SKIP_2) | instid1(VALU_DEP_2)
	v_mad_u32 v1, s19, v18, v11
	v_add_nc_u32_e32 v11, v36, v12
	v_lshl_add_u64 v[12:13], v[6:7], 1, v[4:5]
	v_mad_u32 v37, s9, v11, v14
	s_delay_alu instid0(VALU_DEP_4)
	v_mad_u32 v11, s18, v19, v1
	s_branch .LBB10_42
.LBB10_41:                              ;   in Loop: Header=BB10_42 Depth=3
	s_or_b32 exec_lo, exec_lo, s39
	s_add_co_i32 s38, s38, 1
	s_add_nc_u64 s[36:37], s[36:37], s[30:31]
	s_cmp_lt_i32 s38, s33
	s_cbranch_scc0 .LBB10_26
.LBB10_42:                              ;   Parent Loop BB10_12 Depth=1
                                        ;     Parent Loop BB10_27 Depth=2
                                        ; =>    This Loop Header: Depth=3
                                        ;         Child Loop BB10_54 Depth 4
                                        ;           Child Loop BB10_69 Depth 5
	s_ashr_i32 s39, s38, 31
	s_delay_alu instid0(SALU_CYCLE_1) | instskip(NEXT) | instid1(SALU_CYCLE_1)
	s_add_nc_u64 s[40:41], s[38:39], 1
	s_mul_u64 s[40:41], s[40:41], s[10:11]
	s_delay_alu instid0(SALU_CYCLE_1) | instskip(NEXT) | instid1(SALU_CYCLE_1)
	s_add_nc_u64 s[42:43], s[40:41], -1
	s_or_b64 s[40:41], s[42:43], s[12:13]
	s_delay_alu instid0(SALU_CYCLE_1) | instskip(NEXT) | instid1(SALU_CYCLE_1)
	s_and_b64 s[40:41], s[40:41], 0xffffffff00000000
	s_cmp_lg_u64 s[40:41], 0
	s_cbranch_scc0 .LBB10_81
; %bb.43:                               ;   in Loop: Header=BB10_42 Depth=3
	s_ashr_i32 s40, s13, 31
	s_delay_alu instid0(SALU_CYCLE_1) | instskip(NEXT) | instid1(SALU_CYCLE_1)
	s_mov_b32 s41, s40
	s_add_nc_u64 s[44:45], s[12:13], s[40:41]
	s_delay_alu instid0(SALU_CYCLE_1) | instskip(NEXT) | instid1(SALU_CYCLE_1)
	s_xor_b64 s[44:45], s[44:45], s[40:41]
	s_cvt_f32_u32 s3, s44
	s_cvt_f32_u32 s14, s45
	s_sub_nc_u64 s[48:49], 0, s[44:45]
	s_delay_alu instid0(SALU_CYCLE_2) | instskip(NEXT) | instid1(SALU_CYCLE_3)
	s_fmamk_f32 s3, s14, 0x4f800000, s3
	v_s_rcp_f32 s3, s3
	s_delay_alu instid0(TRANS32_DEP_1) | instskip(NEXT) | instid1(SALU_CYCLE_3)
	s_mul_f32 s3, s3, 0x5f7ffffc
	s_mul_f32 s14, s3, 0x2f800000
	s_delay_alu instid0(SALU_CYCLE_3) | instskip(NEXT) | instid1(SALU_CYCLE_3)
	s_trunc_f32 s14, s14
	s_fmamk_f32 s3, s14, 0xcf800000, s3
	s_cvt_u32_f32 s47, s14
	s_delay_alu instid0(SALU_CYCLE_2) | instskip(NEXT) | instid1(SALU_CYCLE_3)
	s_cvt_u32_f32 s46, s3
	s_mul_u64 s[56:57], s[48:49], s[46:47]
	s_delay_alu instid0(SALU_CYCLE_1)
	s_mul_hi_u32 s59, s46, s57
	s_mul_i32 s58, s46, s57
	s_mul_hi_u32 s14, s46, s56
	s_mul_i32 s60, s47, s56
	s_add_nc_u64 s[58:59], s[14:15], s[58:59]
	s_mul_hi_u32 s3, s47, s56
	s_mul_hi_u32 s61, s47, s57
	s_add_co_u32 s14, s58, s60
	s_add_co_ci_u32 s14, s59, s3
	s_mul_i32 s56, s47, s57
	s_add_co_ci_u32 s57, s61, 0
	s_delay_alu instid0(SALU_CYCLE_1) | instskip(NEXT) | instid1(SALU_CYCLE_1)
	s_add_nc_u64 s[56:57], s[14:15], s[56:57]
	s_add_co_u32 s46, s46, s56
	s_cselect_b32 s3, -1, 0
	s_delay_alu instid0(SALU_CYCLE_1) | instskip(SKIP_1) | instid1(SALU_CYCLE_1)
	s_cmp_lg_u32 s3, 0
	s_add_co_ci_u32 s47, s47, s57
	s_mul_u64 s[48:49], s[48:49], s[46:47]
	s_delay_alu instid0(SALU_CYCLE_1)
	s_mul_hi_u32 s57, s46, s49
	s_mul_i32 s56, s46, s49
	s_mul_hi_u32 s14, s46, s48
	s_mul_i32 s58, s47, s48
	s_add_nc_u64 s[56:57], s[14:15], s[56:57]
	s_mul_hi_u32 s3, s47, s48
	s_mul_hi_u32 s59, s47, s49
	s_add_co_u32 s14, s56, s58
	s_add_co_ci_u32 s14, s57, s3
	s_mul_i32 s48, s47, s49
	s_add_co_ci_u32 s49, s59, 0
	s_delay_alu instid0(SALU_CYCLE_1) | instskip(NEXT) | instid1(SALU_CYCLE_1)
	s_add_nc_u64 s[48:49], s[14:15], s[48:49]
	s_add_co_u32 s3, s46, s48
	s_cselect_b32 s14, -1, 0
	s_delay_alu instid0(SALU_CYCLE_1) | instskip(SKIP_2) | instid1(SALU_CYCLE_1)
	s_cmp_lg_u32 s14, 0
	s_add_co_ci_u32 s58, s47, s49
	s_ashr_i32 s46, s43, 31
	s_mov_b32 s47, s46
	s_delay_alu instid0(SALU_CYCLE_1) | instskip(NEXT) | instid1(SALU_CYCLE_1)
	s_add_nc_u64 s[48:49], s[42:43], s[46:47]
	s_xor_b64 s[48:49], s[48:49], s[46:47]
	s_delay_alu instid0(SALU_CYCLE_1)
	s_mul_hi_u32 s57, s48, s58
	s_mul_i32 s56, s48, s58
	s_mul_hi_u32 s14, s48, s3
	s_mul_hi_u32 s59, s49, s3
	s_mul_i32 s3, s49, s3
	s_add_nc_u64 s[56:57], s[14:15], s[56:57]
	s_mul_hi_u32 s43, s49, s58
	s_add_co_u32 s3, s56, s3
	s_add_co_ci_u32 s14, s57, s59
	s_mul_i32 s58, s49, s58
	s_add_co_ci_u32 s59, s43, 0
	s_delay_alu instid0(SALU_CYCLE_1) | instskip(NEXT) | instid1(SALU_CYCLE_1)
	s_add_nc_u64 s[56:57], s[14:15], s[58:59]
	s_and_b64 s[58:59], s[56:57], 0xffffffff00000000
	s_delay_alu instid0(SALU_CYCLE_1) | instskip(NEXT) | instid1(SALU_CYCLE_1)
	s_or_b32 s58, s58, s56
	s_mul_u64 s[56:57], s[44:45], s[58:59]
	s_add_nc_u64 s[60:61], s[58:59], 1
	s_sub_co_u32 s3, s48, s56
	s_cselect_b32 s14, -1, 0
	s_sub_co_i32 s43, s49, s57
	s_cmp_lg_u32 s14, 0
	s_add_nc_u64 s[62:63], s[58:59], 2
	s_sub_co_ci_u32 s43, s43, s45
	s_sub_co_u32 s48, s3, s44
	s_cselect_b32 s56, -1, 0
	s_delay_alu instid0(SALU_CYCLE_1) | instskip(SKIP_1) | instid1(SALU_CYCLE_1)
	s_cmp_lg_u32 s56, 0
	s_sub_co_ci_u32 s43, s43, 0
	s_cmp_ge_u32 s43, s45
	s_cselect_b32 s56, -1, 0
	s_cmp_ge_u32 s48, s44
	s_cselect_b32 s48, -1, 0
	s_cmp_eq_u32 s43, s45
	s_cselect_b32 s43, s48, s56
	s_delay_alu instid0(SALU_CYCLE_1) | instskip(SKIP_4) | instid1(SALU_CYCLE_1)
	s_cmp_lg_u32 s43, 0
	s_cselect_b32 s43, s62, s60
	s_cselect_b32 s48, s63, s61
	s_cmp_lg_u32 s14, 0
	s_sub_co_ci_u32 s14, s49, s57
	s_cmp_ge_u32 s14, s45
	s_cselect_b32 s49, -1, 0
	s_cmp_ge_u32 s3, s44
	s_cselect_b32 s3, -1, 0
	s_cmp_eq_u32 s14, s45
	s_cselect_b32 s3, s3, s49
	s_delay_alu instid0(SALU_CYCLE_1) | instskip(SKIP_3) | instid1(SALU_CYCLE_1)
	s_cmp_lg_u32 s3, 0
	s_cselect_b32 s45, s48, s59
	s_cselect_b32 s44, s43, s58
	s_xor_b64 s[40:41], s[46:47], s[40:41]
	s_xor_b64 s[44:45], s[44:45], s[40:41]
	s_delay_alu instid0(SALU_CYCLE_1) | instskip(SKIP_1) | instid1(VALU_DEP_1)
	s_sub_nc_u64 s[40:41], s[44:45], s[40:41]
	v_cvt_f32_u32_e32 v1, s12
	v_rcp_iflag_f32_e32 v1, v1
	s_cbranch_execnz .LBB10_45
.LBB10_44:                              ;   in Loop: Header=BB10_42 Depth=3
	v_nop
	s_delay_alu instid0(TRANS32_DEP_1) | instskip(SKIP_1) | instid1(VALU_DEP_1)
	v_mul_f32_e32 v7, 0x4f7ffffe, v1
	s_sub_co_i32 s14, 0, s12
	v_cvt_u32_f32_e32 v7, v7
	s_delay_alu instid0(VALU_DEP_1) | instskip(SKIP_1) | instid1(SALU_CYCLE_1)
	v_readfirstlane_b32 s3, v7
	s_mul_i32 s14, s14, s3
	s_mul_hi_u32 s14, s3, s14
	s_delay_alu instid0(SALU_CYCLE_1) | instskip(NEXT) | instid1(SALU_CYCLE_1)
	s_add_co_i32 s3, s3, s14
	s_mul_hi_u32 s3, s42, s3
	s_delay_alu instid0(SALU_CYCLE_1) | instskip(SKIP_2) | instid1(SALU_CYCLE_1)
	s_mul_i32 s14, s3, s12
	s_add_co_i32 s40, s3, 1
	s_sub_co_i32 s14, s42, s14
	s_sub_co_i32 s41, s14, s12
	s_cmp_ge_u32 s14, s12
	s_cselect_b32 s3, s40, s3
	s_cselect_b32 s14, s41, s14
	s_add_co_i32 s40, s3, 1
	s_cmp_ge_u32 s14, s12
	s_cselect_b32 s40, s40, s3
.LBB10_45:                              ;   in Loop: Header=BB10_42 Depth=3
	s_or_b64 s[42:43], s[38:39], s[12:13]
	s_delay_alu instid0(SALU_CYCLE_1) | instskip(NEXT) | instid1(SALU_CYCLE_1)
	s_and_b64 s[42:43], s[42:43], 0xffffffff00000000
	s_cmp_lg_u64 s[42:43], 0
	s_cbranch_scc0 .LBB10_82
; %bb.46:                               ;   in Loop: Header=BB10_42 Depth=3
	s_ashr_i32 s42, s13, 31
	s_delay_alu instid0(SALU_CYCLE_1) | instskip(NEXT) | instid1(SALU_CYCLE_1)
	s_mov_b32 s43, s42
	s_add_nc_u64 s[44:45], s[12:13], s[42:43]
	s_delay_alu instid0(SALU_CYCLE_1) | instskip(NEXT) | instid1(SALU_CYCLE_1)
	s_xor_b64 s[44:45], s[44:45], s[42:43]
	s_cvt_f32_u32 s3, s44
	s_cvt_f32_u32 s14, s45
	s_sub_nc_u64 s[48:49], 0, s[44:45]
	s_delay_alu instid0(SALU_CYCLE_2) | instskip(NEXT) | instid1(SALU_CYCLE_3)
	s_fmamk_f32 s3, s14, 0x4f800000, s3
	v_s_rcp_f32 s3, s3
	s_delay_alu instid0(TRANS32_DEP_1) | instskip(NEXT) | instid1(SALU_CYCLE_3)
	s_mul_f32 s3, s3, 0x5f7ffffc
	s_mul_f32 s14, s3, 0x2f800000
	s_delay_alu instid0(SALU_CYCLE_3) | instskip(NEXT) | instid1(SALU_CYCLE_3)
	s_trunc_f32 s14, s14
	s_fmamk_f32 s3, s14, 0xcf800000, s3
	s_cvt_u32_f32 s47, s14
	s_delay_alu instid0(SALU_CYCLE_2) | instskip(NEXT) | instid1(SALU_CYCLE_3)
	s_cvt_u32_f32 s46, s3
	s_mul_u64 s[56:57], s[48:49], s[46:47]
	s_delay_alu instid0(SALU_CYCLE_1)
	s_mul_hi_u32 s59, s46, s57
	s_mul_i32 s58, s46, s57
	s_mul_hi_u32 s14, s46, s56
	s_mul_i32 s41, s47, s56
	s_add_nc_u64 s[58:59], s[14:15], s[58:59]
	s_mul_hi_u32 s3, s47, s56
	s_mul_hi_u32 s60, s47, s57
	s_add_co_u32 s14, s58, s41
	s_add_co_ci_u32 s14, s59, s3
	s_mul_i32 s56, s47, s57
	s_add_co_ci_u32 s57, s60, 0
	s_delay_alu instid0(SALU_CYCLE_1) | instskip(NEXT) | instid1(SALU_CYCLE_1)
	s_add_nc_u64 s[56:57], s[14:15], s[56:57]
	s_add_co_u32 s46, s46, s56
	s_cselect_b32 s3, -1, 0
	s_delay_alu instid0(SALU_CYCLE_1) | instskip(SKIP_1) | instid1(SALU_CYCLE_1)
	s_cmp_lg_u32 s3, 0
	s_add_co_ci_u32 s47, s47, s57
	s_mul_u64 s[48:49], s[48:49], s[46:47]
	s_delay_alu instid0(SALU_CYCLE_1)
	s_mul_hi_u32 s57, s46, s49
	s_mul_i32 s56, s46, s49
	s_mul_hi_u32 s14, s46, s48
	s_mul_i32 s41, s47, s48
	s_add_nc_u64 s[56:57], s[14:15], s[56:57]
	s_mul_hi_u32 s3, s47, s48
	s_mul_hi_u32 s58, s47, s49
	s_add_co_u32 s14, s56, s41
	s_add_co_ci_u32 s14, s57, s3
	s_mul_i32 s48, s47, s49
	s_add_co_ci_u32 s49, s58, 0
	s_delay_alu instid0(SALU_CYCLE_1) | instskip(NEXT) | instid1(SALU_CYCLE_1)
	s_add_nc_u64 s[48:49], s[14:15], s[48:49]
	s_add_co_u32 s3, s46, s48
	s_cselect_b32 s14, -1, 0
	s_delay_alu instid0(SALU_CYCLE_1) | instskip(SKIP_2) | instid1(SALU_CYCLE_1)
	s_cmp_lg_u32 s14, 0
	s_add_co_ci_u32 s41, s47, s49
	s_ashr_i32 s46, s39, 31
	s_mov_b32 s47, s46
	s_delay_alu instid0(SALU_CYCLE_1) | instskip(NEXT) | instid1(SALU_CYCLE_1)
	s_add_nc_u64 s[48:49], s[38:39], s[46:47]
	s_xor_b64 s[48:49], s[48:49], s[46:47]
	s_delay_alu instid0(SALU_CYCLE_1)
	s_mul_hi_u32 s57, s48, s41
	s_mul_i32 s56, s48, s41
	s_mul_hi_u32 s14, s48, s3
	s_mul_hi_u32 s60, s49, s3
	s_mul_i32 s3, s49, s3
	s_add_nc_u64 s[56:57], s[14:15], s[56:57]
	s_mul_hi_u32 s59, s49, s41
	s_add_co_u32 s3, s56, s3
	s_add_co_ci_u32 s14, s57, s60
	s_mul_i32 s58, s49, s41
	s_add_co_ci_u32 s59, s59, 0
	s_delay_alu instid0(SALU_CYCLE_1) | instskip(NEXT) | instid1(SALU_CYCLE_1)
	s_add_nc_u64 s[56:57], s[14:15], s[58:59]
	s_and_b64 s[58:59], s[56:57], 0xffffffff00000000
	s_delay_alu instid0(SALU_CYCLE_1) | instskip(NEXT) | instid1(SALU_CYCLE_1)
	s_or_b32 s58, s58, s56
	s_mul_u64 s[56:57], s[44:45], s[58:59]
	s_add_nc_u64 s[60:61], s[58:59], 1
	s_sub_co_u32 s3, s48, s56
	s_cselect_b32 s14, -1, 0
	s_sub_co_i32 s41, s49, s57
	s_cmp_lg_u32 s14, 0
	s_add_nc_u64 s[62:63], s[58:59], 2
	s_sub_co_ci_u32 s41, s41, s45
	s_sub_co_u32 s48, s3, s44
	s_cselect_b32 s56, -1, 0
	s_delay_alu instid0(SALU_CYCLE_1) | instskip(SKIP_1) | instid1(SALU_CYCLE_1)
	s_cmp_lg_u32 s56, 0
	s_sub_co_ci_u32 s41, s41, 0
	s_cmp_ge_u32 s41, s45
	s_cselect_b32 s56, -1, 0
	s_cmp_ge_u32 s48, s44
	s_cselect_b32 s48, -1, 0
	s_cmp_eq_u32 s41, s45
	s_cselect_b32 s41, s48, s56
	s_delay_alu instid0(SALU_CYCLE_1) | instskip(SKIP_4) | instid1(SALU_CYCLE_1)
	s_cmp_lg_u32 s41, 0
	s_cselect_b32 s41, s62, s60
	s_cselect_b32 s48, s63, s61
	s_cmp_lg_u32 s14, 0
	s_sub_co_ci_u32 s14, s49, s57
	s_cmp_ge_u32 s14, s45
	s_cselect_b32 s49, -1, 0
	s_cmp_ge_u32 s3, s44
	s_cselect_b32 s3, -1, 0
	s_cmp_eq_u32 s14, s45
	s_cselect_b32 s3, s3, s49
	s_delay_alu instid0(SALU_CYCLE_1) | instskip(SKIP_3) | instid1(SALU_CYCLE_1)
	s_cmp_lg_u32 s3, 0
	s_cselect_b32 s45, s48, s59
	s_cselect_b32 s44, s41, s58
	s_xor_b64 s[42:43], s[46:47], s[42:43]
	s_xor_b64 s[44:45], s[44:45], s[42:43]
	s_delay_alu instid0(SALU_CYCLE_1)
	s_sub_nc_u64 s[42:43], s[44:45], s[42:43]
	s_cbranch_execnz .LBB10_48
.LBB10_47:                              ;   in Loop: Header=BB10_42 Depth=3
	v_nop
	v_mul_f32_e32 v7, 0x4f7ffffe, v1
	s_sub_co_i32 s14, 0, s12
	s_delay_alu instid0(VALU_DEP_1) | instskip(NEXT) | instid1(VALU_DEP_1)
	v_cvt_u32_f32_e32 v7, v7
	v_readfirstlane_b32 s3, v7
	s_mul_i32 s14, s14, s3
	s_delay_alu instid0(SALU_CYCLE_1) | instskip(NEXT) | instid1(SALU_CYCLE_1)
	s_mul_hi_u32 s14, s3, s14
	s_add_co_i32 s3, s3, s14
	s_delay_alu instid0(SALU_CYCLE_1) | instskip(NEXT) | instid1(SALU_CYCLE_1)
	s_mul_hi_u32 s3, s38, s3
	s_mul_i32 s14, s3, s12
	s_add_co_i32 s41, s3, 1
	s_sub_co_i32 s14, s38, s14
	s_delay_alu instid0(SALU_CYCLE_1)
	s_sub_co_i32 s42, s14, s12
	s_cmp_ge_u32 s14, s12
	s_cselect_b32 s3, s41, s3
	s_cselect_b32 s14, s42, s14
	s_add_co_i32 s41, s3, 1
	s_cmp_ge_u32 s14, s12
	s_cselect_b32 s14, s41, s3
	s_delay_alu instid0(SALU_CYCLE_1)
	s_mov_b64 s[42:43], s[14:15]
.LBB10_48:                              ;   in Loop: Header=BB10_42 Depth=3
	s_delay_alu instid0(SALU_CYCLE_1) | instskip(NEXT) | instid1(SALU_CYCLE_1)
	s_mul_u64 s[44:45], s[42:43], s[12:13]
	s_sub_nc_u64 s[44:45], s[38:39], s[44:45]
	s_delay_alu instid0(SALU_CYCLE_1) | instskip(NEXT) | instid1(SALU_CYCLE_1)
	s_mul_u64 s[44:45], s[44:45], s[10:11]
	s_or_b64 s[46:47], s[44:45], s[12:13]
	s_delay_alu instid0(SALU_CYCLE_1) | instskip(NEXT) | instid1(SALU_CYCLE_1)
	s_and_b64 s[46:47], s[46:47], 0xffffffff00000000
	s_cmp_lg_u64 s[46:47], 0
	s_cbranch_scc0 .LBB10_83
; %bb.49:                               ;   in Loop: Header=BB10_42 Depth=3
	s_ashr_i32 s46, s13, 31
	s_delay_alu instid0(SALU_CYCLE_1) | instskip(NEXT) | instid1(SALU_CYCLE_1)
	s_mov_b32 s47, s46
	s_add_nc_u64 s[48:49], s[12:13], s[46:47]
	s_delay_alu instid0(SALU_CYCLE_1) | instskip(NEXT) | instid1(SALU_CYCLE_1)
	s_xor_b64 s[48:49], s[48:49], s[46:47]
	s_cvt_f32_u32 s3, s48
	s_cvt_f32_u32 s14, s49
	s_sub_nc_u64 s[58:59], 0, s[48:49]
	s_delay_alu instid0(SALU_CYCLE_2) | instskip(NEXT) | instid1(SALU_CYCLE_3)
	s_fmamk_f32 s3, s14, 0x4f800000, s3
	v_s_rcp_f32 s3, s3
	s_delay_alu instid0(TRANS32_DEP_1) | instskip(NEXT) | instid1(SALU_CYCLE_3)
	s_mul_f32 s3, s3, 0x5f7ffffc
	s_mul_f32 s14, s3, 0x2f800000
	s_delay_alu instid0(SALU_CYCLE_3) | instskip(NEXT) | instid1(SALU_CYCLE_3)
	s_trunc_f32 s14, s14
	s_fmamk_f32 s3, s14, 0xcf800000, s3
	s_cvt_u32_f32 s57, s14
	s_delay_alu instid0(SALU_CYCLE_2) | instskip(NEXT) | instid1(SALU_CYCLE_3)
	s_cvt_u32_f32 s56, s3
	s_mul_u64 s[60:61], s[58:59], s[56:57]
	s_delay_alu instid0(SALU_CYCLE_1)
	s_mul_hi_u32 s63, s56, s61
	s_mul_i32 s62, s56, s61
	s_mul_hi_u32 s14, s56, s60
	s_mul_i32 s39, s57, s60
	s_add_nc_u64 s[62:63], s[14:15], s[62:63]
	s_mul_hi_u32 s3, s57, s60
	s_mul_hi_u32 s41, s57, s61
	s_add_co_u32 s14, s62, s39
	s_add_co_ci_u32 s14, s63, s3
	s_mul_i32 s60, s57, s61
	s_add_co_ci_u32 s61, s41, 0
	s_delay_alu instid0(SALU_CYCLE_1) | instskip(NEXT) | instid1(SALU_CYCLE_1)
	s_add_nc_u64 s[60:61], s[14:15], s[60:61]
	s_add_co_u32 s56, s56, s60
	s_cselect_b32 s3, -1, 0
	s_delay_alu instid0(SALU_CYCLE_1) | instskip(SKIP_1) | instid1(SALU_CYCLE_1)
	s_cmp_lg_u32 s3, 0
	s_add_co_ci_u32 s57, s57, s61
	s_mul_u64 s[58:59], s[58:59], s[56:57]
	s_delay_alu instid0(SALU_CYCLE_1)
	s_mul_hi_u32 s61, s56, s59
	s_mul_i32 s60, s56, s59
	s_mul_hi_u32 s14, s56, s58
	s_mul_i32 s39, s57, s58
	s_add_nc_u64 s[60:61], s[14:15], s[60:61]
	s_mul_hi_u32 s3, s57, s58
	s_mul_hi_u32 s41, s57, s59
	s_add_co_u32 s14, s60, s39
	s_add_co_ci_u32 s14, s61, s3
	s_mul_i32 s58, s57, s59
	s_add_co_ci_u32 s59, s41, 0
	s_delay_alu instid0(SALU_CYCLE_1) | instskip(NEXT) | instid1(SALU_CYCLE_1)
	s_add_nc_u64 s[58:59], s[14:15], s[58:59]
	s_add_co_u32 s3, s56, s58
	s_cselect_b32 s14, -1, 0
	s_delay_alu instid0(SALU_CYCLE_1) | instskip(SKIP_2) | instid1(SALU_CYCLE_1)
	s_cmp_lg_u32 s14, 0
	s_add_co_ci_u32 s39, s57, s59
	s_ashr_i32 s56, s45, 31
	s_mov_b32 s57, s56
	s_delay_alu instid0(SALU_CYCLE_1) | instskip(NEXT) | instid1(SALU_CYCLE_1)
	s_add_nc_u64 s[58:59], s[44:45], s[56:57]
	s_xor_b64 s[58:59], s[58:59], s[56:57]
	s_delay_alu instid0(SALU_CYCLE_1)
	s_mul_hi_u32 s61, s58, s39
	s_mul_i32 s60, s58, s39
	s_mul_hi_u32 s14, s58, s3
	s_mul_hi_u32 s43, s59, s3
	s_mul_i32 s3, s59, s3
	s_add_nc_u64 s[60:61], s[14:15], s[60:61]
	s_mul_hi_u32 s41, s59, s39
	s_add_co_u32 s3, s60, s3
	s_add_co_ci_u32 s14, s61, s43
	s_mul_i32 s62, s59, s39
	s_add_co_ci_u32 s63, s41, 0
	s_delay_alu instid0(SALU_CYCLE_1) | instskip(NEXT) | instid1(SALU_CYCLE_1)
	s_add_nc_u64 s[60:61], s[14:15], s[62:63]
	s_and_b64 s[62:63], s[60:61], 0xffffffff00000000
	s_delay_alu instid0(SALU_CYCLE_1) | instskip(NEXT) | instid1(SALU_CYCLE_1)
	s_or_b32 s62, s62, s60
	s_mul_u64 s[60:61], s[48:49], s[62:63]
	s_add_nc_u64 s[64:65], s[62:63], 1
	s_sub_co_u32 s3, s58, s60
	s_cselect_b32 s14, -1, 0
	s_sub_co_i32 s39, s59, s61
	s_cmp_lg_u32 s14, 0
	s_add_nc_u64 s[66:67], s[62:63], 2
	s_sub_co_ci_u32 s39, s39, s49
	s_sub_co_u32 s41, s3, s48
	s_cselect_b32 s43, -1, 0
	s_delay_alu instid0(SALU_CYCLE_1) | instskip(SKIP_1) | instid1(SALU_CYCLE_1)
	s_cmp_lg_u32 s43, 0
	s_sub_co_ci_u32 s39, s39, 0
	s_cmp_ge_u32 s39, s49
	s_cselect_b32 s43, -1, 0
	s_cmp_ge_u32 s41, s48
	s_cselect_b32 s41, -1, 0
	s_cmp_eq_u32 s39, s49
	s_cselect_b32 s39, s41, s43
	s_delay_alu instid0(SALU_CYCLE_1) | instskip(SKIP_4) | instid1(SALU_CYCLE_1)
	s_cmp_lg_u32 s39, 0
	s_cselect_b32 s39, s66, s64
	s_cselect_b32 s41, s67, s65
	s_cmp_lg_u32 s14, 0
	s_sub_co_ci_u32 s14, s59, s61
	s_cmp_ge_u32 s14, s49
	s_cselect_b32 s43, -1, 0
	s_cmp_ge_u32 s3, s48
	s_cselect_b32 s3, -1, 0
	s_cmp_eq_u32 s14, s49
	s_cselect_b32 s3, s3, s43
	s_delay_alu instid0(SALU_CYCLE_1) | instskip(SKIP_3) | instid1(SALU_CYCLE_1)
	s_cmp_lg_u32 s3, 0
	s_cselect_b32 s49, s41, s63
	s_cselect_b32 s48, s39, s62
	s_xor_b64 s[46:47], s[56:57], s[46:47]
	s_xor_b64 s[48:49], s[48:49], s[46:47]
	s_delay_alu instid0(SALU_CYCLE_1)
	s_sub_nc_u64 s[46:47], s[48:49], s[46:47]
	s_cbranch_execnz .LBB10_51
.LBB10_50:                              ;   in Loop: Header=BB10_42 Depth=3
	v_mul_f32_e32 v1, 0x4f7ffffe, v1
	s_sub_co_i32 s14, 0, s12
	s_delay_alu instid0(VALU_DEP_1) | instskip(NEXT) | instid1(VALU_DEP_1)
	v_cvt_u32_f32_e32 v1, v1
	v_readfirstlane_b32 s3, v1
	s_mul_i32 s14, s14, s3
	s_delay_alu instid0(SALU_CYCLE_1) | instskip(NEXT) | instid1(SALU_CYCLE_1)
	s_mul_hi_u32 s14, s3, s14
	s_add_co_i32 s3, s3, s14
	s_delay_alu instid0(SALU_CYCLE_1) | instskip(NEXT) | instid1(SALU_CYCLE_1)
	s_mul_hi_u32 s3, s44, s3
	s_mul_i32 s14, s3, s12
	s_add_co_i32 s39, s3, 1
	s_sub_co_i32 s14, s44, s14
	s_delay_alu instid0(SALU_CYCLE_1)
	s_sub_co_i32 s41, s14, s12
	s_cmp_ge_u32 s14, s12
	s_cselect_b32 s3, s39, s3
	s_cselect_b32 s14, s41, s14
	s_add_co_i32 s39, s3, 1
	s_cmp_ge_u32 s14, s12
	s_cselect_b32 s46, s39, s3
.LBB10_51:                              ;   in Loop: Header=BB10_42 Depth=3
	s_and_saveexec_b32 s39, s1
	s_cbranch_execz .LBB10_41
; %bb.52:                               ;   in Loop: Header=BB10_42 Depth=3
	s_mul_i32 s3, s42, s10
	v_dual_mov_b32 v14, v37 :: v_dual_mov_b32 v16, v3
	s_add_co_i32 s3, s3, s46
	s_mov_b32 s45, 0
	s_sub_co_i32 s44, s40, s3
	s_delay_alu instid0(SALU_CYCLE_1)
	s_add_co_i32 s44, s44, 1
	s_branch .LBB10_54
.LBB10_53:                              ;   in Loop: Header=BB10_54 Depth=4
	s_or_b32 exec_lo, exec_lo, s46
	v_dual_add_nc_u32 v16, 1, v16 :: v_dual_add_nc_u32 v14, s9, v14
	s_delay_alu instid0(VALU_DEP_1) | instskip(SKIP_1) | instid1(SALU_CYCLE_1)
	v_cmp_ge_i32_e32 vcc_lo, v16, v35
	s_or_b32 s45, vcc_lo, s45
	s_and_not1_b32 exec_lo, exec_lo, s45
	s_cbranch_execz .LBB10_41
.LBB10_54:                              ;   Parent Loop BB10_12 Depth=1
                                        ;     Parent Loop BB10_27 Depth=2
                                        ;       Parent Loop BB10_42 Depth=3
                                        ; =>      This Loop Header: Depth=4
                                        ;           Child Loop BB10_69 Depth 5
	s_and_saveexec_b32 s46, s2
	s_cbranch_execz .LBB10_53
; %bb.55:                               ;   in Loop: Header=BB10_54 Depth=4
	v_ashrrev_i32_e32 v17, 31, v16
	s_mov_b32 s3, exec_lo
	s_delay_alu instid0(VALU_DEP_1) | instskip(NEXT) | instid1(VALU_DEP_1)
	v_add_nc_u64_e32 v[18:19], 1, v[16:17]
	v_mad_nc_u64_u32 v[20:21], v18, s16, -1
	s_delay_alu instid0(VALU_DEP_1) | instskip(NEXT) | instid1(VALU_DEP_1)
	v_mad_u32 v1, v19, s16, v21
	v_mad_u32 v21, v18, s17, v1
                                        ; implicit-def: $vgpr18_vgpr19
	s_delay_alu instid0(VALU_DEP_1) | instskip(NEXT) | instid1(VALU_DEP_1)
	v_or_b32_e32 v1, s21, v21
	v_cmpx_ne_u64_e32 0, v[0:1]
	s_xor_b32 s47, exec_lo, s3
	s_cbranch_execz .LBB10_57
; %bb.56:                               ;   in Loop: Header=BB10_54 Depth=4
	s_ashr_i32 s40, s21, 31
	v_dual_mov_b32 v23, v0 :: v_dual_ashrrev_i32 v18, 31, v21
	s_mov_b32 s41, s40
	s_delay_alu instid0(SALU_CYCLE_1) | instskip(NEXT) | instid1(VALU_DEP_1)
	s_add_nc_u64 s[42:43], s[20:21], s[40:41]
	v_mov_b32_e32 v19, v18
	s_xor_b64 s[42:43], s[42:43], s[40:41]
	s_delay_alu instid0(SALU_CYCLE_1)
	s_cvt_f32_u32 s3, s42
	s_cvt_f32_u32 s14, s43
	s_sub_nc_u64 s[56:57], 0, s[42:43]
	v_add_nc_u64_e32 v[20:21], v[20:21], v[18:19]
	v_mov_b32_e32 v27, v0
	s_fmamk_f32 s3, s14, 0x4f800000, s3
	s_delay_alu instid0(SALU_CYCLE_3) | instskip(NEXT) | instid1(VALU_DEP_2)
	v_s_rcp_f32 s3, s3
	v_xor_b32_e32 v22, v20, v18
	s_delay_alu instid0(VALU_DEP_3) | instskip(SKIP_1) | instid1(TRANS32_DEP_1)
	v_dual_mov_b32 v31, v0 :: v_dual_bitop2_b32 v26, v21, v18 bitop3:0x14
	v_xor_b32_e32 v18, s40, v18
	s_mul_f32 s3, s3, 0x5f7ffffc
	s_delay_alu instid0(SALU_CYCLE_3) | instskip(NEXT) | instid1(SALU_CYCLE_3)
	s_mul_f32 s14, s3, 0x2f800000
	s_trunc_f32 s14, s14
	s_delay_alu instid0(SALU_CYCLE_3) | instskip(SKIP_1) | instid1(SALU_CYCLE_2)
	s_fmamk_f32 s3, s14, 0xcf800000, s3
	s_cvt_u32_f32 s49, s14
	s_cvt_u32_f32 s48, s3
	s_delay_alu instid0(SALU_CYCLE_3) | instskip(NEXT) | instid1(SALU_CYCLE_1)
	s_mul_u64 s[58:59], s[56:57], s[48:49]
	s_mul_hi_u32 s61, s48, s59
	s_mul_i32 s60, s48, s59
	s_mul_hi_u32 s14, s48, s58
	s_mul_i32 s41, s49, s58
	s_add_nc_u64 s[60:61], s[14:15], s[60:61]
	s_mul_hi_u32 s3, s49, s58
	s_mul_hi_u32 s62, s49, s59
	s_add_co_u32 s14, s60, s41
	s_add_co_ci_u32 s14, s61, s3
	s_mul_i32 s58, s49, s59
	s_add_co_ci_u32 s59, s62, 0
	s_delay_alu instid0(SALU_CYCLE_1) | instskip(NEXT) | instid1(SALU_CYCLE_1)
	s_add_nc_u64 s[58:59], s[14:15], s[58:59]
	s_add_co_u32 s48, s48, s58
	s_cselect_b32 s3, -1, 0
	s_delay_alu instid0(SALU_CYCLE_1) | instskip(SKIP_1) | instid1(SALU_CYCLE_1)
	s_cmp_lg_u32 s3, 0
	s_add_co_ci_u32 s49, s49, s59
	s_mul_u64 s[56:57], s[56:57], s[48:49]
	s_delay_alu instid0(SALU_CYCLE_1)
	s_mul_hi_u32 s59, s48, s57
	s_mul_i32 s58, s48, s57
	s_mul_hi_u32 s14, s48, s56
	s_mul_i32 s41, s49, s56
	s_add_nc_u64 s[58:59], s[14:15], s[58:59]
	s_mul_hi_u32 s3, s49, s56
	s_mul_hi_u32 s60, s49, s57
	s_add_co_u32 s14, s58, s41
	s_add_co_ci_u32 s14, s59, s3
	s_mul_i32 s56, s49, s57
	s_add_co_ci_u32 s57, s60, 0
	s_delay_alu instid0(SALU_CYCLE_1) | instskip(NEXT) | instid1(SALU_CYCLE_1)
	s_add_nc_u64 s[56:57], s[14:15], s[56:57]
	s_add_co_u32 s48, s48, s56
	s_cselect_b32 s3, -1, 0
	v_mul_hi_u32 v30, v22, s48
	s_cmp_lg_u32 s3, 0
	s_add_co_ci_u32 s14, s49, s57
	s_and_b64 s[56:57], s[48:49], s[24:25]
	v_mul_u64_e32 v[24:25], s[14:15], v[22:23]
	v_mul_u64_e32 v[20:21], s[56:57], v[26:27]
	;; [unrolled: 1-line block ×3, first 2 shown]
	s_delay_alu instid0(VALU_DEP_3) | instskip(NEXT) | instid1(VALU_DEP_1)
	v_add_nc_u64_e32 v[24:25], v[30:31], v[24:25]
	v_add_co_u32 v1, vcc_lo, v24, v20
	s_delay_alu instid0(VALU_DEP_2) | instskip(NEXT) | instid1(VALU_DEP_4)
	v_add_co_ci_u32_e32 v30, vcc_lo, v25, v21, vcc_lo
	v_add_co_ci_u32_e32 v29, vcc_lo, 0, v29, vcc_lo
	s_delay_alu instid0(VALU_DEP_1) | instskip(NEXT) | instid1(VALU_DEP_1)
	v_add_nc_u64_e32 v[20:21], v[30:31], v[28:29]
	v_mul_u64_e32 v[24:25], s[42:43], v[20:21]
	s_delay_alu instid0(VALU_DEP_1) | instskip(NEXT) | instid1(VALU_DEP_2)
	v_sub_nc_u32_e32 v1, v26, v25
	v_sub_co_u32 v7, vcc_lo, v22, v24
	s_delay_alu instid0(VALU_DEP_1) | instskip(NEXT) | instid1(VALU_DEP_3)
	v_sub_co_ci_u32_e64 v19, null, v26, v25, vcc_lo
	v_subrev_co_ci_u32_e64 v1, null, s43, v1, vcc_lo
	s_delay_alu instid0(VALU_DEP_3) | instskip(SKIP_1) | instid1(VALU_DEP_3)
	v_sub_co_u32 v15, s3, v7, s42
	v_add_nc_u64_e32 v[24:25], 1, v[20:21]
	v_subrev_co_ci_u32_e64 v1, null, 0, v1, s3
	s_delay_alu instid0(VALU_DEP_3) | instskip(SKIP_1) | instid1(VALU_DEP_3)
	v_cmp_le_u32_e32 vcc_lo, s42, v15
	v_cndmask_b32_e64 v15, 0, -1, vcc_lo
	v_cmp_le_u32_e32 vcc_lo, s43, v1
	v_cndmask_b32_e64 v22, 0, -1, vcc_lo
	;; [unrolled: 2-line block ×4, first 2 shown]
	v_cmp_eq_u32_e32 vcc_lo, s43, v1
	v_cndmask_b32_e32 v1, v22, v15, vcc_lo
	v_cmp_eq_u32_e32 vcc_lo, s43, v19
	v_add_nc_u64_e32 v[22:23], 2, v[20:21]
	v_mov_b32_e32 v19, v18
	v_cndmask_b32_e32 v7, v26, v7, vcc_lo
	v_cmp_ne_u32_e32 vcc_lo, 0, v1
	s_delay_alu instid0(VALU_DEP_2) | instskip(SKIP_1) | instid1(VALU_DEP_1)
	v_cmp_ne_u32_e64 s3, 0, v7
	v_dual_cndmask_b32 v1, v25, v23, vcc_lo :: v_dual_cndmask_b32 v7, v24, v22, vcc_lo
	v_dual_cndmask_b32 v1, v21, v1, s3 :: v_dual_cndmask_b32 v7, v20, v7, s3
	s_delay_alu instid0(VALU_DEP_1) | instskip(NEXT) | instid1(VALU_DEP_2)
	v_xor_b32_e32 v21, v1, v18
	v_xor_b32_e32 v20, v7, v18
	s_delay_alu instid0(VALU_DEP_1)
	v_sub_nc_u64_e32 v[18:19], v[20:21], v[18:19]
                                        ; implicit-def: $vgpr20_vgpr21
.LBB10_57:                              ;   in Loop: Header=BB10_54 Depth=4
	s_or_saveexec_b32 s3, s47
	v_cvt_f32_u32_e32 v7, s20
	s_xor_b32 exec_lo, exec_lo, s3
	s_cbranch_execz .LBB10_59
; %bb.58:                               ;   in Loop: Header=BB10_54 Depth=4
	s_delay_alu instid0(VALU_DEP_1) | instskip(SKIP_2) | instid1(TRANS32_DEP_1)
	v_rcp_iflag_f32_e32 v1, v7
	s_sub_co_i32 s14, 0, s20
	v_nop
	v_mul_f32_e32 v1, 0x4f7ffffe, v1
	s_delay_alu instid0(VALU_DEP_1) | instskip(NEXT) | instid1(VALU_DEP_1)
	v_cvt_u32_f32_e32 v1, v1
	v_mul_lo_u32 v15, s14, v1
	s_delay_alu instid0(VALU_DEP_1) | instskip(NEXT) | instid1(VALU_DEP_1)
	v_mul_hi_u32 v15, v1, v15
	v_add_nc_u32_e32 v1, v1, v15
	s_delay_alu instid0(VALU_DEP_1) | instskip(NEXT) | instid1(VALU_DEP_1)
	v_mul_hi_u32 v1, v20, v1
	v_mul_lo_u32 v15, v1, s20
	s_delay_alu instid0(VALU_DEP_1) | instskip(NEXT) | instid1(VALU_DEP_1)
	v_sub_nc_u32_e32 v15, v20, v15
	v_subrev_nc_u32_e32 v19, s20, v15
	v_cmp_le_u32_e32 vcc_lo, s20, v15
	s_delay_alu instid0(VALU_DEP_2) | instskip(NEXT) | instid1(VALU_DEP_1)
	v_dual_cndmask_b32 v15, v15, v19 :: v_dual_add_nc_u32 v18, 1, v1
	v_cndmask_b32_e32 v1, v1, v18, vcc_lo
	s_delay_alu instid0(VALU_DEP_2) | instskip(NEXT) | instid1(VALU_DEP_2)
	v_cmp_le_u32_e32 vcc_lo, s20, v15
	v_add_nc_u32_e32 v18, 1, v1
	s_delay_alu instid0(VALU_DEP_1)
	v_cndmask_b32_e32 v18, v1, v18, vcc_lo
.LBB10_59:                              ;   in Loop: Header=BB10_54 Depth=4
	s_or_b32 exec_lo, exec_lo, s3
	v_or_b32_e32 v1, s21, v17
                                        ; implicit-def: $vgpr20_vgpr21
	s_mov_b32 s3, exec_lo
	s_delay_alu instid0(VALU_DEP_1)
	v_cmpx_ne_u64_e32 0, v[0:1]
	s_xor_b32 s47, exec_lo, s3
	s_cbranch_execz .LBB10_61
; %bb.60:                               ;   in Loop: Header=BB10_54 Depth=4
	s_ashr_i32 s40, s21, 31
	v_dual_mov_b32 v25, v0 :: v_dual_ashrrev_i32 v20, 31, v17
	s_mov_b32 s41, s40
	v_mov_b32_e32 v41, v0
	s_add_nc_u64 s[42:43], s[20:21], s[40:41]
	s_delay_alu instid0(VALU_DEP_2) | instskip(SKIP_1) | instid1(SALU_CYCLE_1)
	v_mov_b32_e32 v21, v20
	s_xor_b64 s[42:43], s[42:43], s[40:41]
	s_cvt_f32_u32 s3, s42
	s_cvt_f32_u32 s14, s43
	s_sub_nc_u64 s[56:57], 0, s[42:43]
	v_add_nc_u64_e32 v[22:23], v[16:17], v[20:21]
	v_mov_b32_e32 v29, v0
	s_fmamk_f32 s3, s14, 0x4f800000, s3
	s_delay_alu instid0(SALU_CYCLE_3) | instskip(NEXT) | instid1(VALU_DEP_2)
	v_s_rcp_f32 s3, s3
	v_xor_b32_e32 v24, v22, v20
	s_delay_alu instid0(VALU_DEP_3) | instskip(SKIP_1) | instid1(TRANS32_DEP_1)
	v_xor_b32_e32 v28, v23, v20
	v_xor_b32_e32 v20, s40, v20
	s_mul_f32 s3, s3, 0x5f7ffffc
	s_delay_alu instid0(SALU_CYCLE_3) | instskip(NEXT) | instid1(SALU_CYCLE_3)
	s_mul_f32 s14, s3, 0x2f800000
	s_trunc_f32 s14, s14
	s_delay_alu instid0(SALU_CYCLE_3) | instskip(SKIP_1) | instid1(SALU_CYCLE_2)
	s_fmamk_f32 s3, s14, 0xcf800000, s3
	s_cvt_u32_f32 s49, s14
	s_cvt_u32_f32 s48, s3
	s_delay_alu instid0(SALU_CYCLE_3) | instskip(NEXT) | instid1(SALU_CYCLE_1)
	s_mul_u64 s[58:59], s[56:57], s[48:49]
	s_mul_hi_u32 s61, s48, s59
	s_mul_i32 s60, s48, s59
	s_mul_hi_u32 s14, s48, s58
	s_mul_i32 s41, s49, s58
	s_add_nc_u64 s[60:61], s[14:15], s[60:61]
	s_mul_hi_u32 s3, s49, s58
	s_mul_hi_u32 s62, s49, s59
	s_add_co_u32 s14, s60, s41
	s_add_co_ci_u32 s14, s61, s3
	s_mul_i32 s58, s49, s59
	s_add_co_ci_u32 s59, s62, 0
	s_delay_alu instid0(SALU_CYCLE_1) | instskip(NEXT) | instid1(SALU_CYCLE_1)
	s_add_nc_u64 s[58:59], s[14:15], s[58:59]
	s_add_co_u32 s48, s48, s58
	s_cselect_b32 s3, -1, 0
	s_delay_alu instid0(SALU_CYCLE_1) | instskip(SKIP_1) | instid1(SALU_CYCLE_1)
	s_cmp_lg_u32 s3, 0
	s_add_co_ci_u32 s49, s49, s59
	s_mul_u64 s[56:57], s[56:57], s[48:49]
	s_delay_alu instid0(SALU_CYCLE_1)
	s_mul_hi_u32 s59, s48, s57
	s_mul_i32 s58, s48, s57
	s_mul_hi_u32 s14, s48, s56
	s_mul_i32 s41, s49, s56
	s_add_nc_u64 s[58:59], s[14:15], s[58:59]
	s_mul_hi_u32 s3, s49, s56
	s_mul_hi_u32 s60, s49, s57
	s_add_co_u32 s14, s58, s41
	s_add_co_ci_u32 s14, s59, s3
	s_mul_i32 s56, s49, s57
	s_add_co_ci_u32 s57, s60, 0
	s_delay_alu instid0(SALU_CYCLE_1) | instskip(NEXT) | instid1(SALU_CYCLE_1)
	s_add_nc_u64 s[56:57], s[14:15], s[56:57]
	s_add_co_u32 s48, s48, s56
	s_cselect_b32 s3, -1, 0
	v_mul_hi_u32 v40, v24, s48
	s_cmp_lg_u32 s3, 0
	s_add_co_ci_u32 s14, s49, s57
	s_and_b64 s[56:57], s[48:49], s[24:25]
	v_mul_u64_e32 v[26:27], s[14:15], v[24:25]
	v_mul_u64_e32 v[22:23], s[56:57], v[28:29]
	;; [unrolled: 1-line block ×3, first 2 shown]
	s_delay_alu instid0(VALU_DEP_3) | instskip(NEXT) | instid1(VALU_DEP_1)
	v_add_nc_u64_e32 v[26:27], v[40:41], v[26:27]
	v_add_co_u32 v1, vcc_lo, v26, v22
	s_delay_alu instid0(VALU_DEP_2) | instskip(NEXT) | instid1(VALU_DEP_4)
	v_add_co_ci_u32_e32 v40, vcc_lo, v27, v23, vcc_lo
	v_add_co_ci_u32_e32 v31, vcc_lo, 0, v31, vcc_lo
	s_delay_alu instid0(VALU_DEP_1) | instskip(NEXT) | instid1(VALU_DEP_1)
	v_add_nc_u64_e32 v[22:23], v[40:41], v[30:31]
	v_mul_u64_e32 v[26:27], s[42:43], v[22:23]
	s_delay_alu instid0(VALU_DEP_1) | instskip(NEXT) | instid1(VALU_DEP_2)
	v_sub_nc_u32_e32 v1, v28, v27
	v_sub_co_u32 v15, vcc_lo, v24, v26
	s_delay_alu instid0(VALU_DEP_1) | instskip(NEXT) | instid1(VALU_DEP_3)
	v_sub_co_ci_u32_e64 v21, null, v28, v27, vcc_lo
	v_subrev_co_ci_u32_e64 v1, null, s43, v1, vcc_lo
	s_delay_alu instid0(VALU_DEP_3) | instskip(SKIP_1) | instid1(VALU_DEP_3)
	v_sub_co_u32 v19, s3, v15, s42
	v_add_nc_u64_e32 v[26:27], 1, v[22:23]
	v_subrev_co_ci_u32_e64 v1, null, 0, v1, s3
	s_delay_alu instid0(VALU_DEP_3) | instskip(SKIP_1) | instid1(VALU_DEP_3)
	v_cmp_le_u32_e32 vcc_lo, s42, v19
	v_cndmask_b32_e64 v19, 0, -1, vcc_lo
	v_cmp_le_u32_e32 vcc_lo, s43, v1
	v_cndmask_b32_e64 v24, 0, -1, vcc_lo
	;; [unrolled: 2-line block ×4, first 2 shown]
	v_cmp_eq_u32_e32 vcc_lo, s43, v1
	v_cndmask_b32_e32 v1, v24, v19, vcc_lo
	v_cmp_eq_u32_e32 vcc_lo, s43, v21
	v_add_nc_u64_e32 v[24:25], 2, v[22:23]
	v_mov_b32_e32 v21, v20
	v_cndmask_b32_e32 v15, v28, v15, vcc_lo
	v_cmp_ne_u32_e32 vcc_lo, 0, v1
	s_delay_alu instid0(VALU_DEP_2) | instskip(SKIP_1) | instid1(VALU_DEP_1)
	v_cmp_ne_u32_e64 s3, 0, v15
	v_dual_cndmask_b32 v1, v27, v25, vcc_lo :: v_dual_cndmask_b32 v15, v26, v24, vcc_lo
	v_dual_cndmask_b32 v1, v23, v1, s3 :: v_dual_cndmask_b32 v15, v22, v15, s3
	s_delay_alu instid0(VALU_DEP_1) | instskip(NEXT) | instid1(VALU_DEP_2)
	v_xor_b32_e32 v23, v1, v20
	v_xor_b32_e32 v22, v15, v20
	s_delay_alu instid0(VALU_DEP_1)
	v_sub_nc_u64_e32 v[20:21], v[22:23], v[20:21]
.LBB10_61:                              ;   in Loop: Header=BB10_54 Depth=4
	s_and_not1_saveexec_b32 s3, s47
	s_cbranch_execz .LBB10_63
; %bb.62:                               ;   in Loop: Header=BB10_54 Depth=4
	v_rcp_iflag_f32_e32 v1, v7
	s_sub_co_i32 s14, 0, s20
	v_mov_b32_e32 v21, v0
	s_delay_alu instid0(TRANS32_DEP_1) | instskip(NEXT) | instid1(VALU_DEP_1)
	v_mul_f32_e32 v1, 0x4f7ffffe, v1
	v_cvt_u32_f32_e32 v1, v1
	s_delay_alu instid0(VALU_DEP_1) | instskip(NEXT) | instid1(VALU_DEP_1)
	v_mul_lo_u32 v15, s14, v1
	v_mul_hi_u32 v15, v1, v15
	s_delay_alu instid0(VALU_DEP_1) | instskip(NEXT) | instid1(VALU_DEP_1)
	v_add_nc_u32_e32 v1, v1, v15
	v_mul_hi_u32 v1, v16, v1
	s_delay_alu instid0(VALU_DEP_1) | instskip(NEXT) | instid1(VALU_DEP_1)
	v_mul_lo_u32 v15, v1, s20
	v_sub_nc_u32_e32 v15, v16, v15
	s_delay_alu instid0(VALU_DEP_1) | instskip(SKIP_1) | instid1(VALU_DEP_2)
	v_subrev_nc_u32_e32 v20, s20, v15
	v_cmp_le_u32_e32 vcc_lo, s20, v15
	v_dual_add_nc_u32 v19, 1, v1 :: v_dual_cndmask_b32 v15, v15, v20, vcc_lo
	s_delay_alu instid0(VALU_DEP_1) | instskip(NEXT) | instid1(VALU_DEP_2)
	v_cndmask_b32_e32 v1, v1, v19, vcc_lo
	v_cmp_le_u32_e32 vcc_lo, s20, v15
	s_delay_alu instid0(VALU_DEP_2) | instskip(NEXT) | instid1(VALU_DEP_1)
	v_add_nc_u32_e32 v19, 1, v1
	v_cndmask_b32_e32 v20, v1, v19, vcc_lo
.LBB10_63:                              ;   in Loop: Header=BB10_54 Depth=4
	s_or_b32 exec_lo, exec_lo, s3
	s_delay_alu instid0(VALU_DEP_1) | instskip(SKIP_1) | instid1(VALU_DEP_1)
	v_mul_u64_e32 v[22:23], s[20:21], v[20:21]
                                        ; implicit-def: $vgpr24_vgpr25
	s_mov_b32 s3, exec_lo
	v_sub_nc_u64_e32 v[22:23], v[16:17], v[22:23]
	s_delay_alu instid0(VALU_DEP_1) | instskip(NEXT) | instid1(VALU_DEP_1)
	v_mul_u64_e32 v[22:23], s[16:17], v[22:23]
	v_or_b32_e32 v1, s21, v23
	s_delay_alu instid0(VALU_DEP_1)
	v_cmpx_ne_u64_e32 0, v[0:1]
	s_xor_b32 s47, exec_lo, s3
	s_cbranch_execz .LBB10_65
; %bb.64:                               ;   in Loop: Header=BB10_54 Depth=4
	s_ashr_i32 s40, s21, 31
	v_dual_mov_b32 v27, v0 :: v_dual_ashrrev_i32 v24, 31, v23
	s_mov_b32 s41, s40
	s_delay_alu instid0(SALU_CYCLE_1) | instskip(NEXT) | instid1(VALU_DEP_1)
	s_add_nc_u64 s[42:43], s[20:21], s[40:41]
	v_mov_b32_e32 v25, v24
	s_xor_b64 s[42:43], s[42:43], s[40:41]
	s_delay_alu instid0(SALU_CYCLE_1)
	s_cvt_f32_u32 s3, s42
	s_cvt_f32_u32 s14, s43
	s_sub_nc_u64 s[56:57], 0, s[42:43]
	v_add_nc_u64_e32 v[22:23], v[22:23], v[24:25]
	v_mov_b32_e32 v31, v0
	s_fmamk_f32 s3, s14, 0x4f800000, s3
	s_delay_alu instid0(SALU_CYCLE_3) | instskip(NEXT) | instid1(VALU_DEP_2)
	v_s_rcp_f32 s3, s3
	v_xor_b32_e32 v26, v22, v24
	s_delay_alu instid0(VALU_DEP_3) | instskip(SKIP_1) | instid1(TRANS32_DEP_1)
	v_dual_mov_b32 v43, v0 :: v_dual_bitop2_b32 v30, v23, v24 bitop3:0x14
	v_xor_b32_e32 v24, s40, v24
	s_mul_f32 s3, s3, 0x5f7ffffc
	s_delay_alu instid0(VALU_DEP_1) | instskip(NEXT) | instid1(SALU_CYCLE_2)
	v_mov_b32_e32 v25, v24
	s_mul_f32 s14, s3, 0x2f800000
	s_delay_alu instid0(SALU_CYCLE_3) | instskip(NEXT) | instid1(SALU_CYCLE_3)
	s_trunc_f32 s14, s14
	s_fmamk_f32 s3, s14, 0xcf800000, s3
	s_cvt_u32_f32 s49, s14
	s_delay_alu instid0(SALU_CYCLE_2) | instskip(NEXT) | instid1(SALU_CYCLE_3)
	s_cvt_u32_f32 s48, s3
	s_mul_u64 s[58:59], s[56:57], s[48:49]
	s_delay_alu instid0(SALU_CYCLE_1)
	s_mul_hi_u32 s61, s48, s59
	s_mul_i32 s60, s48, s59
	s_mul_hi_u32 s14, s48, s58
	s_mul_i32 s41, s49, s58
	s_add_nc_u64 s[60:61], s[14:15], s[60:61]
	s_mul_hi_u32 s3, s49, s58
	s_mul_hi_u32 s62, s49, s59
	s_add_co_u32 s14, s60, s41
	s_add_co_ci_u32 s14, s61, s3
	s_mul_i32 s58, s49, s59
	s_add_co_ci_u32 s59, s62, 0
	s_delay_alu instid0(SALU_CYCLE_1) | instskip(NEXT) | instid1(SALU_CYCLE_1)
	s_add_nc_u64 s[58:59], s[14:15], s[58:59]
	s_add_co_u32 s48, s48, s58
	s_cselect_b32 s3, -1, 0
	s_delay_alu instid0(SALU_CYCLE_1) | instskip(SKIP_1) | instid1(SALU_CYCLE_1)
	s_cmp_lg_u32 s3, 0
	s_add_co_ci_u32 s49, s49, s59
	s_mul_u64 s[56:57], s[56:57], s[48:49]
	s_delay_alu instid0(SALU_CYCLE_1)
	s_mul_hi_u32 s59, s48, s57
	s_mul_i32 s58, s48, s57
	s_mul_hi_u32 s14, s48, s56
	s_mul_i32 s41, s49, s56
	s_add_nc_u64 s[58:59], s[14:15], s[58:59]
	s_mul_hi_u32 s3, s49, s56
	s_mul_hi_u32 s60, s49, s57
	s_add_co_u32 s14, s58, s41
	s_add_co_ci_u32 s14, s59, s3
	s_mul_i32 s56, s49, s57
	s_add_co_ci_u32 s57, s60, 0
	s_delay_alu instid0(SALU_CYCLE_1) | instskip(NEXT) | instid1(SALU_CYCLE_1)
	s_add_nc_u64 s[56:57], s[14:15], s[56:57]
	s_add_co_u32 s48, s48, s56
	s_cselect_b32 s3, -1, 0
	v_mul_hi_u32 v42, v26, s48
	s_cmp_lg_u32 s3, 0
	s_add_co_ci_u32 s14, s49, s57
	s_and_b64 s[56:57], s[48:49], s[24:25]
	v_mul_u64_e32 v[28:29], s[14:15], v[26:27]
	v_mul_u64_e32 v[22:23], s[56:57], v[30:31]
	v_mul_u64_e32 v[40:41], s[14:15], v[30:31]
	s_delay_alu instid0(VALU_DEP_3) | instskip(NEXT) | instid1(VALU_DEP_1)
	v_add_nc_u64_e32 v[28:29], v[42:43], v[28:29]
	v_add_co_u32 v1, vcc_lo, v28, v22
	s_delay_alu instid0(VALU_DEP_2) | instskip(NEXT) | instid1(VALU_DEP_4)
	v_add_co_ci_u32_e32 v42, vcc_lo, v29, v23, vcc_lo
	v_add_co_ci_u32_e32 v41, vcc_lo, 0, v41, vcc_lo
	s_delay_alu instid0(VALU_DEP_1) | instskip(NEXT) | instid1(VALU_DEP_1)
	v_add_nc_u64_e32 v[22:23], v[42:43], v[40:41]
	v_mul_u64_e32 v[28:29], s[42:43], v[22:23]
	s_delay_alu instid0(VALU_DEP_1) | instskip(NEXT) | instid1(VALU_DEP_2)
	v_sub_nc_u32_e32 v1, v30, v29
	v_sub_co_u32 v7, vcc_lo, v26, v28
	s_delay_alu instid0(VALU_DEP_1) | instskip(NEXT) | instid1(VALU_DEP_3)
	v_sub_co_ci_u32_e64 v17, null, v30, v29, vcc_lo
	v_subrev_co_ci_u32_e64 v1, null, s43, v1, vcc_lo
	s_delay_alu instid0(VALU_DEP_3) | instskip(SKIP_1) | instid1(VALU_DEP_3)
	v_sub_co_u32 v15, s3, v7, s42
	v_add_nc_u64_e32 v[26:27], 2, v[22:23]
	v_subrev_co_ci_u32_e64 v1, null, 0, v1, s3
	s_delay_alu instid0(VALU_DEP_3) | instskip(SKIP_2) | instid1(VALU_DEP_4)
	v_cmp_le_u32_e32 vcc_lo, s42, v15
	v_add_nc_u64_e32 v[28:29], 1, v[22:23]
	v_cndmask_b32_e64 v15, 0, -1, vcc_lo
	v_cmp_le_u32_e32 vcc_lo, s43, v1
	v_cndmask_b32_e64 v19, 0, -1, vcc_lo
	v_cmp_le_u32_e32 vcc_lo, s42, v7
	;; [unrolled: 2-line block ×3, first 2 shown]
	v_cndmask_b32_e64 v21, 0, -1, vcc_lo
	v_cmp_eq_u32_e32 vcc_lo, s43, v1
	v_cndmask_b32_e32 v1, v19, v15, vcc_lo
	v_cmp_eq_u32_e32 vcc_lo, s43, v17
	s_delay_alu instid0(VALU_DEP_4) | instskip(NEXT) | instid1(VALU_DEP_3)
	v_cndmask_b32_e32 v7, v21, v7, vcc_lo
	v_cmp_ne_u32_e32 vcc_lo, 0, v1
	s_delay_alu instid0(VALU_DEP_2) | instskip(SKIP_1) | instid1(VALU_DEP_1)
	v_cmp_ne_u32_e64 s3, 0, v7
	v_dual_cndmask_b32 v1, v29, v27, vcc_lo :: v_dual_cndmask_b32 v7, v28, v26, vcc_lo
	v_dual_cndmask_b32 v1, v23, v1, s3 :: v_dual_cndmask_b32 v7, v22, v7, s3
	s_delay_alu instid0(VALU_DEP_1) | instskip(NEXT) | instid1(VALU_DEP_2)
	v_xor_b32_e32 v23, v1, v24
	v_xor_b32_e32 v22, v7, v24
                                        ; implicit-def: $vgpr7
	s_delay_alu instid0(VALU_DEP_1)
	v_sub_nc_u64_e32 v[24:25], v[22:23], v[24:25]
                                        ; implicit-def: $vgpr22_vgpr23
.LBB10_65:                              ;   in Loop: Header=BB10_54 Depth=4
	s_and_not1_saveexec_b32 s3, s47
	s_cbranch_execz .LBB10_67
; %bb.66:                               ;   in Loop: Header=BB10_54 Depth=4
	v_rcp_iflag_f32_e32 v1, v7
	s_sub_co_i32 s14, 0, s20
	v_nop
	s_delay_alu instid0(TRANS32_DEP_1) | instskip(NEXT) | instid1(VALU_DEP_1)
	v_mul_f32_e32 v1, 0x4f7ffffe, v1
	v_cvt_u32_f32_e32 v1, v1
	s_delay_alu instid0(VALU_DEP_1) | instskip(NEXT) | instid1(VALU_DEP_1)
	v_mul_lo_u32 v7, s14, v1
	v_mul_hi_u32 v7, v1, v7
	s_delay_alu instid0(VALU_DEP_1) | instskip(NEXT) | instid1(VALU_DEP_1)
	v_add_nc_u32_e32 v1, v1, v7
	v_mul_hi_u32 v1, v22, v1
	s_delay_alu instid0(VALU_DEP_1) | instskip(NEXT) | instid1(VALU_DEP_1)
	v_mul_lo_u32 v7, v1, s20
	v_dual_add_nc_u32 v15, 1, v1 :: v_dual_sub_nc_u32 v7, v22, v7
	s_delay_alu instid0(VALU_DEP_1) | instskip(SKIP_1) | instid1(VALU_DEP_2)
	v_subrev_nc_u32_e32 v17, s20, v7
	v_cmp_le_u32_e32 vcc_lo, s20, v7
	v_dual_cndmask_b32 v7, v7, v17, vcc_lo :: v_dual_cndmask_b32 v1, v1, v15, vcc_lo
	s_delay_alu instid0(VALU_DEP_1) | instskip(NEXT) | instid1(VALU_DEP_2)
	v_cmp_le_u32_e32 vcc_lo, s20, v7
	v_add_nc_u32_e32 v15, 1, v1
	s_delay_alu instid0(VALU_DEP_1)
	v_cndmask_b32_e32 v24, v1, v15, vcc_lo
.LBB10_67:                              ;   in Loop: Header=BB10_54 Depth=4
	s_or_b32 exec_lo, exec_lo, s3
	global_load_u16 v7, v[12:13], off
	v_mad_u32 v1, v20, s16, v24
	v_mov_b64_e32 v[20:21], v[10:11]
	v_mov_b64_e32 v[22:23], v[8:9]
	s_mov_b32 s47, 0
	s_delay_alu instid0(VALU_DEP_3) | instskip(NEXT) | instid1(VALU_DEP_1)
	v_dual_ashrrev_i32 v15, 31, v14 :: v_dual_sub_nc_u32 v1, v18, v1
	v_lshl_add_u64 v[18:19], v[14:15], 1, s[36:37]
	s_delay_alu instid0(VALU_DEP_2)
	v_mad_u32 v17, s44, v1, s44
	s_branch .LBB10_69
.LBB10_68:                              ;   in Loop: Header=BB10_69 Depth=5
	s_or_b32 exec_lo, exec_lo, s3
	global_load_u16 v1, v[18:19], off
	v_mad_u32 v15, v26, s18, v30
	v_add_nc_u64_e32 v[22:23], 1, v[22:23]
	s_wait_xcnt 0x0
	v_add_nc_u64_e32 v[18:19], 2, v[18:19]
	v_add_nc_u64_e32 v[20:21], s[18:19], v[20:21]
	s_delay_alu instid0(VALU_DEP_4) | instskip(NEXT) | instid1(VALU_DEP_1)
	v_sub_nc_u32_e32 v15, v24, v15
	v_mad_u32 v15, v17, v15, v17
	s_delay_alu instid0(VALU_DEP_1) | instskip(SKIP_2) | instid1(VALU_DEP_1)
	v_cvt_f32_i32_e32 v15, v15
	s_wait_loadcnt 0x0
	v_cvt_f32_f16_e32 v1, v1
	v_div_scale_f32 v24, null, v15, v15, v1
	s_delay_alu instid0(VALU_DEP_1) | instskip(SKIP_1) | instid1(TRANS32_DEP_1)
	v_rcp_f32_e32 v25, v24
	v_nop
	v_fma_f32 v26, -v24, v25, 1.0
	s_delay_alu instid0(VALU_DEP_1) | instskip(SKIP_1) | instid1(VALU_DEP_1)
	v_fmac_f32_e32 v25, v26, v25
	v_div_scale_f32 v26, vcc_lo, v1, v15, v1
	v_mul_f32_e32 v27, v26, v25
	s_delay_alu instid0(VALU_DEP_1) | instskip(NEXT) | instid1(VALU_DEP_1)
	v_fma_f32 v28, -v24, v27, v26
	v_fmac_f32_e32 v27, v28, v25
	s_delay_alu instid0(VALU_DEP_1) | instskip(NEXT) | instid1(VALU_DEP_1)
	v_fma_f32 v24, -v24, v27, v26
	v_div_fmas_f32 v24, v24, v25, v27
	v_cmp_ge_i32_e32 vcc_lo, v22, v38
	s_delay_alu instid0(VALU_DEP_2) | instskip(SKIP_1) | instid1(VALU_DEP_1)
	v_div_fixup_f32 v1, v24, v15, v1
	s_or_b32 s47, vcc_lo, s47
	v_cvt_f16_f32_e32 v1, v1
	s_delay_alu instid0(VALU_DEP_1)
	v_add_f16_e32 v7, v7, v1
	global_store_b16 v[12:13], v7, off
	s_wait_xcnt 0x0
	s_and_not1_b32 exec_lo, exec_lo, s47
	s_cbranch_execz .LBB10_53
.LBB10_69:                              ;   Parent Loop BB10_12 Depth=1
                                        ;     Parent Loop BB10_27 Depth=2
                                        ;       Parent Loop BB10_42 Depth=3
                                        ;         Parent Loop BB10_54 Depth=4
                                        ; =>        This Inner Loop Header: Depth=5
	v_or_b32_e32 v1, s23, v21
                                        ; implicit-def: $vgpr24_vgpr25
	s_mov_b32 s3, exec_lo
	s_wait_xcnt 0x0
	s_delay_alu instid0(VALU_DEP_1)
	v_cmpx_ne_u64_e32 0, v[0:1]
	s_xor_b32 s48, exec_lo, s3
	s_cbranch_execz .LBB10_71
; %bb.70:                               ;   in Loop: Header=BB10_69 Depth=5
	s_ashr_i32 s40, s23, 31
	v_dual_mov_b32 v29, v0 :: v_dual_ashrrev_i32 v24, 31, v21
	s_mov_b32 s41, s40
	v_mov_b32_e32 v45, v0
	s_add_nc_u64 s[42:43], s[22:23], s[40:41]
	s_delay_alu instid0(VALU_DEP_2) | instskip(SKIP_1) | instid1(SALU_CYCLE_1)
	v_mov_b32_e32 v25, v24
	s_xor_b64 s[42:43], s[42:43], s[40:41]
	s_cvt_f32_u32 s3, s42
	s_cvt_f32_u32 s14, s43
	s_sub_nc_u64 s[58:59], 0, s[42:43]
	v_add_nc_u64_e32 v[26:27], v[20:21], v[24:25]
	v_mov_b32_e32 v41, v0
	s_fmamk_f32 s3, s14, 0x4f800000, s3
	s_delay_alu instid0(SALU_CYCLE_3) | instskip(NEXT) | instid1(VALU_DEP_2)
	v_s_rcp_f32 s3, s3
	v_xor_b32_e32 v28, v26, v24
	s_delay_alu instid0(VALU_DEP_3) | instskip(SKIP_1) | instid1(TRANS32_DEP_1)
	v_xor_b32_e32 v40, v27, v24
	v_xor_b32_e32 v24, s40, v24
	s_mul_f32 s3, s3, 0x5f7ffffc
	s_delay_alu instid0(SALU_CYCLE_3) | instskip(NEXT) | instid1(SALU_CYCLE_3)
	s_mul_f32 s14, s3, 0x2f800000
	s_trunc_f32 s14, s14
	s_delay_alu instid0(SALU_CYCLE_3) | instskip(SKIP_1) | instid1(SALU_CYCLE_2)
	s_fmamk_f32 s3, s14, 0xcf800000, s3
	s_cvt_u32_f32 s57, s14
	s_cvt_u32_f32 s56, s3
	s_delay_alu instid0(SALU_CYCLE_3) | instskip(NEXT) | instid1(SALU_CYCLE_1)
	s_mul_u64 s[60:61], s[58:59], s[56:57]
	s_mul_hi_u32 s63, s56, s61
	s_mul_i32 s62, s56, s61
	s_mul_hi_u32 s14, s56, s60
	s_mul_i32 s41, s57, s60
	s_add_nc_u64 s[62:63], s[14:15], s[62:63]
	s_mul_hi_u32 s3, s57, s60
	s_mul_hi_u32 s49, s57, s61
	s_add_co_u32 s14, s62, s41
	s_add_co_ci_u32 s14, s63, s3
	s_mul_i32 s60, s57, s61
	s_add_co_ci_u32 s61, s49, 0
	s_delay_alu instid0(SALU_CYCLE_1) | instskip(NEXT) | instid1(SALU_CYCLE_1)
	s_add_nc_u64 s[60:61], s[14:15], s[60:61]
	s_add_co_u32 s56, s56, s60
	s_cselect_b32 s3, -1, 0
	s_delay_alu instid0(SALU_CYCLE_1) | instskip(SKIP_1) | instid1(SALU_CYCLE_1)
	s_cmp_lg_u32 s3, 0
	s_add_co_ci_u32 s57, s57, s61
	s_mul_u64 s[58:59], s[58:59], s[56:57]
	s_delay_alu instid0(SALU_CYCLE_1)
	s_mul_hi_u32 s61, s56, s59
	s_mul_i32 s60, s56, s59
	s_mul_hi_u32 s14, s56, s58
	s_mul_i32 s41, s57, s58
	s_add_nc_u64 s[60:61], s[14:15], s[60:61]
	s_mul_hi_u32 s3, s57, s58
	s_mul_hi_u32 s49, s57, s59
	s_add_co_u32 s14, s60, s41
	s_add_co_ci_u32 s14, s61, s3
	s_mul_i32 s58, s57, s59
	s_add_co_ci_u32 s59, s49, 0
	s_delay_alu instid0(SALU_CYCLE_1) | instskip(NEXT) | instid1(SALU_CYCLE_1)
	s_add_nc_u64 s[58:59], s[14:15], s[58:59]
	s_add_co_u32 s56, s56, s58
	s_cselect_b32 s3, -1, 0
	v_mul_hi_u32 v44, v28, s56
	s_cmp_lg_u32 s3, 0
	s_add_co_ci_u32 s14, s57, s59
	s_and_b64 s[58:59], s[56:57], s[24:25]
	v_mul_u64_e32 v[30:31], s[14:15], v[28:29]
	v_mul_u64_e32 v[26:27], s[58:59], v[40:41]
	;; [unrolled: 1-line block ×3, first 2 shown]
	s_delay_alu instid0(VALU_DEP_3) | instskip(NEXT) | instid1(VALU_DEP_1)
	v_add_nc_u64_e32 v[30:31], v[44:45], v[30:31]
	v_add_co_u32 v1, vcc_lo, v30, v26
	s_delay_alu instid0(VALU_DEP_2) | instskip(NEXT) | instid1(VALU_DEP_4)
	v_add_co_ci_u32_e32 v44, vcc_lo, v31, v27, vcc_lo
	v_add_co_ci_u32_e32 v43, vcc_lo, 0, v43, vcc_lo
	s_delay_alu instid0(VALU_DEP_1) | instskip(NEXT) | instid1(VALU_DEP_1)
	v_add_nc_u64_e32 v[26:27], v[44:45], v[42:43]
	v_mul_u64_e32 v[30:31], s[42:43], v[26:27]
	s_delay_alu instid0(VALU_DEP_1) | instskip(NEXT) | instid1(VALU_DEP_2)
	v_sub_nc_u32_e32 v1, v40, v31
	v_sub_co_u32 v15, vcc_lo, v28, v30
	s_delay_alu instid0(VALU_DEP_1) | instskip(NEXT) | instid1(VALU_DEP_3)
	v_sub_co_ci_u32_e64 v39, null, v40, v31, vcc_lo
	v_subrev_co_ci_u32_e64 v1, null, s43, v1, vcc_lo
	s_delay_alu instid0(VALU_DEP_3) | instskip(SKIP_1) | instid1(VALU_DEP_3)
	v_sub_co_u32 v25, s3, v15, s42
	v_add_nc_u64_e32 v[30:31], 1, v[26:27]
	v_subrev_co_ci_u32_e64 v1, null, 0, v1, s3
	s_delay_alu instid0(VALU_DEP_3) | instskip(SKIP_1) | instid1(VALU_DEP_3)
	v_cmp_le_u32_e32 vcc_lo, s42, v25
	v_cndmask_b32_e64 v25, 0, -1, vcc_lo
	v_cmp_le_u32_e32 vcc_lo, s43, v1
	v_cndmask_b32_e64 v28, 0, -1, vcc_lo
	;; [unrolled: 2-line block ×4, first 2 shown]
	v_cmp_eq_u32_e32 vcc_lo, s43, v1
	v_cndmask_b32_e32 v1, v28, v25, vcc_lo
	v_cmp_eq_u32_e32 vcc_lo, s43, v39
	v_add_nc_u64_e32 v[28:29], 2, v[26:27]
	v_mov_b32_e32 v25, v24
	v_cndmask_b32_e32 v15, v40, v15, vcc_lo
	v_cmp_ne_u32_e32 vcc_lo, 0, v1
	s_delay_alu instid0(VALU_DEP_2) | instskip(SKIP_1) | instid1(VALU_DEP_1)
	v_cmp_ne_u32_e64 s3, 0, v15
	v_dual_cndmask_b32 v1, v31, v29, vcc_lo :: v_dual_cndmask_b32 v15, v30, v28, vcc_lo
	v_dual_cndmask_b32 v1, v27, v1, s3 :: v_dual_cndmask_b32 v15, v26, v15, s3
	s_delay_alu instid0(VALU_DEP_1) | instskip(NEXT) | instid1(VALU_DEP_2)
	v_xor_b32_e32 v27, v1, v24
	v_xor_b32_e32 v26, v15, v24
	s_delay_alu instid0(VALU_DEP_1)
	v_sub_nc_u64_e32 v[24:25], v[26:27], v[24:25]
.LBB10_71:                              ;   in Loop: Header=BB10_69 Depth=5
	s_or_saveexec_b32 s3, s48
	v_cvt_f32_u32_e32 v15, s22
	s_xor_b32 exec_lo, exec_lo, s3
	s_cbranch_execz .LBB10_73
; %bb.72:                               ;   in Loop: Header=BB10_69 Depth=5
	s_delay_alu instid0(VALU_DEP_1) | instskip(SKIP_2) | instid1(TRANS32_DEP_1)
	v_rcp_iflag_f32_e32 v1, v15
	s_sub_co_i32 s14, 0, s22
	v_nop
	v_mul_f32_e32 v1, 0x4f7ffffe, v1
	s_delay_alu instid0(VALU_DEP_1) | instskip(NEXT) | instid1(VALU_DEP_1)
	v_cvt_u32_f32_e32 v1, v1
	v_mul_lo_u32 v24, s14, v1
	s_delay_alu instid0(VALU_DEP_1) | instskip(NEXT) | instid1(VALU_DEP_1)
	v_mul_hi_u32 v24, v1, v24
	v_add_nc_u32_e32 v1, v1, v24
	s_delay_alu instid0(VALU_DEP_1) | instskip(NEXT) | instid1(VALU_DEP_1)
	v_mul_hi_u32 v1, v20, v1
	v_mul_lo_u32 v24, v1, s22
	s_delay_alu instid0(VALU_DEP_1) | instskip(NEXT) | instid1(VALU_DEP_1)
	v_dual_add_nc_u32 v25, 1, v1 :: v_dual_sub_nc_u32 v24, v20, v24
	v_subrev_nc_u32_e32 v26, s22, v24
	v_cmp_le_u32_e32 vcc_lo, s22, v24
	s_delay_alu instid0(VALU_DEP_2) | instskip(NEXT) | instid1(VALU_DEP_1)
	v_dual_cndmask_b32 v24, v24, v26 :: v_dual_cndmask_b32 v1, v1, v25
	v_cmp_le_u32_e32 vcc_lo, s22, v24
	s_delay_alu instid0(VALU_DEP_2) | instskip(NEXT) | instid1(VALU_DEP_1)
	v_add_nc_u32_e32 v25, 1, v1
	v_cndmask_b32_e32 v24, v1, v25, vcc_lo
.LBB10_73:                              ;   in Loop: Header=BB10_69 Depth=5
	s_or_b32 exec_lo, exec_lo, s3
	v_or_b32_e32 v1, s23, v23
                                        ; implicit-def: $vgpr26_vgpr27
	s_mov_b32 s3, exec_lo
	s_delay_alu instid0(VALU_DEP_1)
	v_cmpx_ne_u64_e32 0, v[0:1]
	s_xor_b32 s48, exec_lo, s3
	s_cbranch_execz .LBB10_75
; %bb.74:                               ;   in Loop: Header=BB10_69 Depth=5
	s_ashr_i32 s40, s23, 31
	v_dual_mov_b32 v31, v0 :: v_dual_ashrrev_i32 v26, 31, v23
	s_mov_b32 s41, s40
	s_delay_alu instid0(SALU_CYCLE_1) | instskip(NEXT) | instid1(VALU_DEP_1)
	s_add_nc_u64 s[42:43], s[22:23], s[40:41]
	v_mov_b32_e32 v27, v26
	s_xor_b64 s[42:43], s[42:43], s[40:41]
	s_delay_alu instid0(SALU_CYCLE_1)
	s_cvt_f32_u32 s3, s42
	s_cvt_f32_u32 s14, s43
	s_sub_nc_u64 s[58:59], 0, s[42:43]
	v_add_nc_u64_e32 v[28:29], v[22:23], v[26:27]
	v_mov_b32_e32 v43, v0
	s_fmamk_f32 s3, s14, 0x4f800000, s3
	s_delay_alu instid0(SALU_CYCLE_3) | instskip(NEXT) | instid1(VALU_DEP_2)
	v_s_rcp_f32 s3, s3
	v_xor_b32_e32 v30, v28, v26
	s_delay_alu instid0(VALU_DEP_3) | instskip(NEXT) | instid1(TRANS32_DEP_1)
	v_dual_mov_b32 v47, v0 :: v_dual_bitop2_b32 v42, v29, v26 bitop3:0x14
	s_mul_f32 s3, s3, 0x5f7ffffc
	s_delay_alu instid0(SALU_CYCLE_3) | instskip(NEXT) | instid1(SALU_CYCLE_3)
	s_mul_f32 s14, s3, 0x2f800000
	s_trunc_f32 s14, s14
	s_delay_alu instid0(SALU_CYCLE_3) | instskip(SKIP_1) | instid1(SALU_CYCLE_2)
	s_fmamk_f32 s3, s14, 0xcf800000, s3
	s_cvt_u32_f32 s57, s14
	s_cvt_u32_f32 s56, s3
	s_delay_alu instid0(SALU_CYCLE_3) | instskip(NEXT) | instid1(SALU_CYCLE_1)
	s_mul_u64 s[60:61], s[58:59], s[56:57]
	s_mul_hi_u32 s63, s56, s61
	s_mul_i32 s62, s56, s61
	s_mul_hi_u32 s14, s56, s60
	s_mul_i32 s41, s57, s60
	s_add_nc_u64 s[62:63], s[14:15], s[62:63]
	s_mul_hi_u32 s3, s57, s60
	s_mul_hi_u32 s49, s57, s61
	s_add_co_u32 s14, s62, s41
	s_add_co_ci_u32 s14, s63, s3
	s_mul_i32 s60, s57, s61
	s_add_co_ci_u32 s61, s49, 0
	s_delay_alu instid0(SALU_CYCLE_1) | instskip(NEXT) | instid1(SALU_CYCLE_1)
	s_add_nc_u64 s[60:61], s[14:15], s[60:61]
	s_add_co_u32 s56, s56, s60
	s_cselect_b32 s3, -1, 0
	s_delay_alu instid0(SALU_CYCLE_1) | instskip(SKIP_1) | instid1(SALU_CYCLE_1)
	s_cmp_lg_u32 s3, 0
	s_add_co_ci_u32 s57, s57, s61
	s_mul_u64 s[58:59], s[58:59], s[56:57]
	s_delay_alu instid0(SALU_CYCLE_1)
	s_mul_hi_u32 s61, s56, s59
	s_mul_i32 s60, s56, s59
	s_mul_hi_u32 s14, s56, s58
	s_mul_i32 s41, s57, s58
	s_add_nc_u64 s[60:61], s[14:15], s[60:61]
	s_mul_hi_u32 s3, s57, s58
	s_mul_hi_u32 s49, s57, s59
	s_add_co_u32 s14, s60, s41
	s_add_co_ci_u32 s14, s61, s3
	s_mul_i32 s58, s57, s59
	s_add_co_ci_u32 s59, s49, 0
	s_delay_alu instid0(SALU_CYCLE_1) | instskip(NEXT) | instid1(SALU_CYCLE_1)
	s_add_nc_u64 s[58:59], s[14:15], s[58:59]
	s_add_co_u32 s56, s56, s58
	s_cselect_b32 s3, -1, 0
	v_mul_hi_u32 v46, v30, s56
	s_cmp_lg_u32 s3, 0
	s_add_co_ci_u32 s14, s57, s59
	s_and_b64 s[58:59], s[56:57], s[24:25]
	v_mul_u64_e32 v[40:41], s[14:15], v[30:31]
	v_mul_u64_e32 v[28:29], s[58:59], v[42:43]
	;; [unrolled: 1-line block ×3, first 2 shown]
	s_delay_alu instid0(VALU_DEP_3) | instskip(NEXT) | instid1(VALU_DEP_1)
	v_add_nc_u64_e32 v[40:41], v[46:47], v[40:41]
	v_add_co_u32 v1, vcc_lo, v40, v28
	s_delay_alu instid0(VALU_DEP_2) | instskip(NEXT) | instid1(VALU_DEP_4)
	v_add_co_ci_u32_e32 v46, vcc_lo, v41, v29, vcc_lo
	v_add_co_ci_u32_e32 v45, vcc_lo, 0, v45, vcc_lo
	s_delay_alu instid0(VALU_DEP_1) | instskip(NEXT) | instid1(VALU_DEP_1)
	v_add_nc_u64_e32 v[28:29], v[46:47], v[44:45]
	v_mul_u64_e32 v[40:41], s[42:43], v[28:29]
	s_delay_alu instid0(VALU_DEP_1) | instskip(NEXT) | instid1(VALU_DEP_2)
	v_sub_nc_u32_e32 v1, v42, v41
	v_sub_co_u32 v25, vcc_lo, v30, v40
	s_delay_alu instid0(VALU_DEP_1) | instskip(NEXT) | instid1(VALU_DEP_3)
	v_sub_co_ci_u32_e64 v39, null, v42, v41, vcc_lo
	v_subrev_co_ci_u32_e64 v1, null, s43, v1, vcc_lo
	s_delay_alu instid0(VALU_DEP_3) | instskip(SKIP_1) | instid1(VALU_DEP_3)
	v_sub_co_u32 v27, s3, v25, s42
	v_add_nc_u64_e32 v[40:41], 1, v[28:29]
	v_subrev_co_ci_u32_e64 v1, null, 0, v1, s3
	s_delay_alu instid0(VALU_DEP_3) | instskip(SKIP_1) | instid1(VALU_DEP_3)
	v_cmp_le_u32_e32 vcc_lo, s42, v27
	v_cndmask_b32_e64 v27, 0, -1, vcc_lo
	v_cmp_le_u32_e32 vcc_lo, s43, v1
	v_cndmask_b32_e64 v30, 0, -1, vcc_lo
	;; [unrolled: 2-line block ×4, first 2 shown]
	v_cmp_eq_u32_e32 vcc_lo, s43, v1
	v_cndmask_b32_e32 v1, v30, v27, vcc_lo
	v_cmp_eq_u32_e32 vcc_lo, s43, v39
	v_add_nc_u64_e32 v[30:31], 2, v[28:29]
	v_cndmask_b32_e32 v25, v42, v25, vcc_lo
	s_delay_alu instid0(VALU_DEP_4) | instskip(NEXT) | instid1(VALU_DEP_3)
	v_cmp_ne_u32_e32 vcc_lo, 0, v1
	v_cndmask_b32_e32 v1, v41, v31, vcc_lo
	s_delay_alu instid0(VALU_DEP_3) | instskip(SKIP_1) | instid1(VALU_DEP_2)
	v_cmp_ne_u32_e64 s3, 0, v25
	v_cndmask_b32_e32 v25, v40, v30, vcc_lo
	v_dual_cndmask_b32 v1, v29, v1, s3 :: v_dual_bitop2_b32 v26, s40, v26 bitop3:0x14
	s_delay_alu instid0(VALU_DEP_1) | instskip(NEXT) | instid1(VALU_DEP_2)
	v_dual_cndmask_b32 v25, v28, v25, s3 :: v_dual_mov_b32 v27, v26
	v_xor_b32_e32 v29, v1, v26
	s_delay_alu instid0(VALU_DEP_2) | instskip(NEXT) | instid1(VALU_DEP_1)
	v_xor_b32_e32 v28, v25, v26
	v_sub_nc_u64_e32 v[26:27], v[28:29], v[26:27]
.LBB10_75:                              ;   in Loop: Header=BB10_69 Depth=5
	s_and_not1_saveexec_b32 s3, s48
	s_cbranch_execz .LBB10_77
; %bb.76:                               ;   in Loop: Header=BB10_69 Depth=5
	v_rcp_iflag_f32_e32 v1, v15
	s_sub_co_i32 s14, 0, s22
	v_nop
	s_delay_alu instid0(TRANS32_DEP_1) | instskip(NEXT) | instid1(VALU_DEP_1)
	v_mul_f32_e32 v1, 0x4f7ffffe, v1
	v_cvt_u32_f32_e32 v1, v1
	s_delay_alu instid0(VALU_DEP_1) | instskip(NEXT) | instid1(VALU_DEP_1)
	v_mul_lo_u32 v25, s14, v1
	v_mul_hi_u32 v25, v1, v25
	s_delay_alu instid0(VALU_DEP_1) | instskip(NEXT) | instid1(VALU_DEP_1)
	v_add_nc_u32_e32 v1, v1, v25
	v_mul_hi_u32 v1, v22, v1
	s_delay_alu instid0(VALU_DEP_1) | instskip(NEXT) | instid1(VALU_DEP_1)
	v_mul_lo_u32 v25, v1, s22
	v_sub_nc_u32_e32 v25, v22, v25
	s_delay_alu instid0(VALU_DEP_1) | instskip(SKIP_1) | instid1(VALU_DEP_2)
	v_subrev_nc_u32_e32 v27, s22, v25
	v_cmp_le_u32_e32 vcc_lo, s22, v25
	v_dual_cndmask_b32 v25, v25, v27 :: v_dual_add_nc_u32 v26, 1, v1
	s_delay_alu instid0(VALU_DEP_1) | instskip(NEXT) | instid1(VALU_DEP_2)
	v_dual_cndmask_b32 v1, v1, v26, vcc_lo :: v_dual_mov_b32 v27, v0
	v_cmp_le_u32_e32 vcc_lo, s22, v25
	s_delay_alu instid0(VALU_DEP_2) | instskip(NEXT) | instid1(VALU_DEP_1)
	v_add_nc_u32_e32 v26, 1, v1
	v_cndmask_b32_e32 v26, v1, v26, vcc_lo
.LBB10_77:                              ;   in Loop: Header=BB10_69 Depth=5
	s_or_b32 exec_lo, exec_lo, s3
	s_delay_alu instid0(VALU_DEP_1) | instskip(SKIP_1) | instid1(VALU_DEP_1)
	v_mul_u64_e32 v[28:29], s[22:23], v[26:27]
                                        ; implicit-def: $vgpr30_vgpr31
	s_mov_b32 s3, exec_lo
	v_sub_nc_u64_e32 v[28:29], v[22:23], v[28:29]
	s_delay_alu instid0(VALU_DEP_1) | instskip(NEXT) | instid1(VALU_DEP_1)
	v_mul_u64_e32 v[28:29], s[18:19], v[28:29]
	v_or_b32_e32 v1, s23, v29
	s_delay_alu instid0(VALU_DEP_1)
	v_cmpx_ne_u64_e32 0, v[0:1]
	s_xor_b32 s48, exec_lo, s3
	s_cbranch_execz .LBB10_79
; %bb.78:                               ;   in Loop: Header=BB10_69 Depth=5
	s_ashr_i32 s40, s23, 31
	v_dual_mov_b32 v41, v0 :: v_dual_ashrrev_i32 v30, 31, v29
	s_mov_b32 s41, s40
	v_mov_b32_e32 v49, v0
	s_add_nc_u64 s[42:43], s[22:23], s[40:41]
	s_delay_alu instid0(VALU_DEP_2) | instskip(SKIP_1) | instid1(SALU_CYCLE_1)
	v_mov_b32_e32 v31, v30
	s_xor_b64 s[42:43], s[42:43], s[40:41]
	s_cvt_f32_u32 s3, s42
	s_cvt_f32_u32 s14, s43
	s_sub_nc_u64 s[58:59], 0, s[42:43]
	v_add_nc_u64_e32 v[28:29], v[28:29], v[30:31]
	v_mov_b32_e32 v45, v0
	s_fmamk_f32 s3, s14, 0x4f800000, s3
	s_delay_alu instid0(SALU_CYCLE_3) | instskip(NEXT) | instid1(VALU_DEP_2)
	v_s_rcp_f32 s3, s3
	v_xor_b32_e32 v40, v28, v30
	s_delay_alu instid0(VALU_DEP_3) | instskip(SKIP_1) | instid1(TRANS32_DEP_1)
	v_xor_b32_e32 v44, v29, v30
	v_xor_b32_e32 v30, s40, v30
	s_mul_f32 s3, s3, 0x5f7ffffc
	s_delay_alu instid0(SALU_CYCLE_3) | instskip(NEXT) | instid1(SALU_CYCLE_3)
	s_mul_f32 s14, s3, 0x2f800000
	s_trunc_f32 s14, s14
	s_delay_alu instid0(SALU_CYCLE_3) | instskip(SKIP_1) | instid1(SALU_CYCLE_2)
	s_fmamk_f32 s3, s14, 0xcf800000, s3
	s_cvt_u32_f32 s57, s14
	s_cvt_u32_f32 s56, s3
	s_delay_alu instid0(SALU_CYCLE_3) | instskip(NEXT) | instid1(SALU_CYCLE_1)
	s_mul_u64 s[60:61], s[58:59], s[56:57]
	s_mul_hi_u32 s63, s56, s61
	s_mul_i32 s62, s56, s61
	s_mul_hi_u32 s14, s56, s60
	s_mul_i32 s41, s57, s60
	s_add_nc_u64 s[62:63], s[14:15], s[62:63]
	s_mul_hi_u32 s3, s57, s60
	s_mul_hi_u32 s49, s57, s61
	s_add_co_u32 s14, s62, s41
	s_add_co_ci_u32 s14, s63, s3
	s_mul_i32 s60, s57, s61
	s_add_co_ci_u32 s61, s49, 0
	s_delay_alu instid0(SALU_CYCLE_1) | instskip(NEXT) | instid1(SALU_CYCLE_1)
	s_add_nc_u64 s[60:61], s[14:15], s[60:61]
	s_add_co_u32 s56, s56, s60
	s_cselect_b32 s3, -1, 0
	s_delay_alu instid0(SALU_CYCLE_1) | instskip(SKIP_1) | instid1(SALU_CYCLE_1)
	s_cmp_lg_u32 s3, 0
	s_add_co_ci_u32 s57, s57, s61
	s_mul_u64 s[58:59], s[58:59], s[56:57]
	s_delay_alu instid0(SALU_CYCLE_1)
	s_mul_hi_u32 s61, s56, s59
	s_mul_i32 s60, s56, s59
	s_mul_hi_u32 s14, s56, s58
	s_mul_i32 s41, s57, s58
	s_add_nc_u64 s[60:61], s[14:15], s[60:61]
	s_mul_hi_u32 s3, s57, s58
	s_mul_hi_u32 s49, s57, s59
	s_add_co_u32 s14, s60, s41
	s_add_co_ci_u32 s14, s61, s3
	s_mul_i32 s58, s57, s59
	s_add_co_ci_u32 s59, s49, 0
	s_delay_alu instid0(SALU_CYCLE_1) | instskip(NEXT) | instid1(SALU_CYCLE_1)
	s_add_nc_u64 s[58:59], s[14:15], s[58:59]
	s_add_co_u32 s56, s56, s58
	s_cselect_b32 s3, -1, 0
	v_mul_hi_u32 v48, v40, s56
	s_cmp_lg_u32 s3, 0
	s_add_co_ci_u32 s14, s57, s59
	s_and_b64 s[58:59], s[56:57], s[24:25]
	v_mul_u64_e32 v[42:43], s[14:15], v[40:41]
	v_mul_u64_e32 v[28:29], s[58:59], v[44:45]
	;; [unrolled: 1-line block ×3, first 2 shown]
	s_delay_alu instid0(VALU_DEP_3) | instskip(NEXT) | instid1(VALU_DEP_1)
	v_add_nc_u64_e32 v[42:43], v[48:49], v[42:43]
	v_add_co_u32 v1, vcc_lo, v42, v28
	s_delay_alu instid0(VALU_DEP_2) | instskip(NEXT) | instid1(VALU_DEP_4)
	v_add_co_ci_u32_e32 v48, vcc_lo, v43, v29, vcc_lo
	v_add_co_ci_u32_e32 v47, vcc_lo, 0, v47, vcc_lo
	s_delay_alu instid0(VALU_DEP_1) | instskip(NEXT) | instid1(VALU_DEP_1)
	v_add_nc_u64_e32 v[28:29], v[48:49], v[46:47]
	v_mul_u64_e32 v[42:43], s[42:43], v[28:29]
	s_delay_alu instid0(VALU_DEP_1) | instskip(SKIP_1) | instid1(VALU_DEP_3)
	v_sub_co_u32 v15, vcc_lo, v40, v42
	v_add_nc_u64_e32 v[40:41], 2, v[28:29]
	v_sub_nc_u32_e32 v1, v44, v43
	v_sub_co_ci_u32_e64 v27, null, v44, v43, vcc_lo
	s_delay_alu instid0(VALU_DEP_4) | instskip(NEXT) | instid1(VALU_DEP_3)
	v_sub_co_u32 v25, s3, v15, s42
	v_subrev_co_ci_u32_e64 v1, null, s43, v1, vcc_lo
	v_add_nc_u64_e32 v[42:43], 1, v[28:29]
	s_delay_alu instid0(VALU_DEP_3) | instskip(NEXT) | instid1(VALU_DEP_3)
	v_cmp_le_u32_e32 vcc_lo, s42, v25
	v_subrev_co_ci_u32_e64 v1, null, 0, v1, s3
	v_cndmask_b32_e64 v25, 0, -1, vcc_lo
	s_delay_alu instid0(VALU_DEP_2)
	v_cmp_le_u32_e32 vcc_lo, s43, v1
	v_cndmask_b32_e64 v31, 0, -1, vcc_lo
	v_cmp_le_u32_e32 vcc_lo, s42, v15
	v_cndmask_b32_e64 v15, 0, -1, vcc_lo
	;; [unrolled: 2-line block ×3, first 2 shown]
	v_cmp_eq_u32_e32 vcc_lo, s43, v1
	v_cndmask_b32_e32 v1, v31, v25, vcc_lo
	v_cmp_eq_u32_e32 vcc_lo, s43, v27
	s_delay_alu instid0(VALU_DEP_4) | instskip(NEXT) | instid1(VALU_DEP_3)
	v_dual_mov_b32 v31, v30 :: v_dual_cndmask_b32 v15, v39, v15, vcc_lo
	v_cmp_ne_u32_e32 vcc_lo, 0, v1
	s_delay_alu instid0(VALU_DEP_2) | instskip(SKIP_1) | instid1(VALU_DEP_1)
	v_cmp_ne_u32_e64 s3, 0, v15
	v_dual_cndmask_b32 v15, v42, v40, vcc_lo :: v_dual_cndmask_b32 v1, v43, v41, vcc_lo
	v_dual_cndmask_b32 v15, v28, v15, s3 :: v_dual_cndmask_b32 v1, v29, v1, s3
	s_delay_alu instid0(VALU_DEP_1) | instskip(NEXT) | instid1(VALU_DEP_2)
	v_xor_b32_e32 v28, v15, v30
	v_xor_b32_e32 v29, v1, v30
                                        ; implicit-def: $vgpr15
	s_delay_alu instid0(VALU_DEP_1)
	v_sub_nc_u64_e32 v[30:31], v[28:29], v[30:31]
                                        ; implicit-def: $vgpr28_vgpr29
.LBB10_79:                              ;   in Loop: Header=BB10_69 Depth=5
	s_and_not1_saveexec_b32 s3, s48
	s_cbranch_execz .LBB10_68
; %bb.80:                               ;   in Loop: Header=BB10_69 Depth=5
	v_rcp_iflag_f32_e32 v1, v15
	s_sub_co_i32 s14, 0, s22
	v_nop
	s_delay_alu instid0(TRANS32_DEP_1) | instskip(NEXT) | instid1(VALU_DEP_1)
	v_mul_f32_e32 v1, 0x4f7ffffe, v1
	v_cvt_u32_f32_e32 v1, v1
	s_delay_alu instid0(VALU_DEP_1) | instskip(NEXT) | instid1(VALU_DEP_1)
	v_mul_lo_u32 v15, s14, v1
	v_mul_hi_u32 v15, v1, v15
	s_delay_alu instid0(VALU_DEP_1) | instskip(NEXT) | instid1(VALU_DEP_1)
	v_add_nc_u32_e32 v1, v1, v15
	v_mul_hi_u32 v1, v28, v1
	s_delay_alu instid0(VALU_DEP_1) | instskip(NEXT) | instid1(VALU_DEP_1)
	v_mul_lo_u32 v15, v1, s22
	v_sub_nc_u32_e32 v15, v28, v15
	s_delay_alu instid0(VALU_DEP_1) | instskip(SKIP_1) | instid1(VALU_DEP_2)
	v_subrev_nc_u32_e32 v27, s22, v15
	v_cmp_le_u32_e32 vcc_lo, s22, v15
	v_dual_add_nc_u32 v25, 1, v1 :: v_dual_cndmask_b32 v15, v15, v27, vcc_lo
	s_delay_alu instid0(VALU_DEP_1) | instskip(NEXT) | instid1(VALU_DEP_2)
	v_cndmask_b32_e32 v1, v1, v25, vcc_lo
	v_cmp_le_u32_e32 vcc_lo, s22, v15
	s_delay_alu instid0(VALU_DEP_2) | instskip(NEXT) | instid1(VALU_DEP_1)
	v_add_nc_u32_e32 v25, 1, v1
	v_cndmask_b32_e32 v30, v1, v25, vcc_lo
	s_branch .LBB10_68
.LBB10_81:                              ;   in Loop: Header=BB10_42 Depth=3
                                        ; implicit-def: $sgpr40_sgpr41
	v_cvt_f32_u32_e32 v1, s12
	s_delay_alu instid0(VALU_DEP_1)
	v_rcp_iflag_f32_e32 v1, v1
	s_branch .LBB10_44
.LBB10_82:                              ;   in Loop: Header=BB10_42 Depth=3
                                        ; implicit-def: $sgpr42_sgpr43
	s_branch .LBB10_47
.LBB10_83:                              ;   in Loop: Header=BB10_42 Depth=3
                                        ; implicit-def: $sgpr46_sgpr47
	s_branch .LBB10_50
.LBB10_84:
	s_endpgm
.LBB10_85:
                                        ; implicit-def: $sgpr14_sgpr15
	v_cvt_f32_u32_e32 v1, s10
	s_branch .LBB10_2
.LBB10_86:
                                        ; implicit-def: $sgpr20_sgpr21
	s_branch .LBB10_5
.LBB10_87:
                                        ; implicit-def: $sgpr24_sgpr25
	s_load_b32 s21, s[0:1], 0x3c
	s_branch .LBB10_8
	.section	.rodata,"a",@progbits
	.p2align	6, 0x0
	.amdhsa_kernel _ZN2at6native12_GLOBAL__N_124adaptiveaveragegradinputIN3c104HalfEfEEvPT_PKS5_iiiiiil
		.amdhsa_group_segment_fixed_size 0
		.amdhsa_private_segment_fixed_size 0
		.amdhsa_kernarg_size 304
		.amdhsa_user_sgpr_count 2
		.amdhsa_user_sgpr_dispatch_ptr 0
		.amdhsa_user_sgpr_queue_ptr 0
		.amdhsa_user_sgpr_kernarg_segment_ptr 1
		.amdhsa_user_sgpr_dispatch_id 0
		.amdhsa_user_sgpr_kernarg_preload_length 0
		.amdhsa_user_sgpr_kernarg_preload_offset 0
		.amdhsa_user_sgpr_private_segment_size 0
		.amdhsa_wavefront_size32 1
		.amdhsa_uses_dynamic_stack 0
		.amdhsa_enable_private_segment 0
		.amdhsa_system_sgpr_workgroup_id_x 1
		.amdhsa_system_sgpr_workgroup_id_y 1
		.amdhsa_system_sgpr_workgroup_id_z 0
		.amdhsa_system_sgpr_workgroup_info 0
		.amdhsa_system_vgpr_workitem_id 1
		.amdhsa_next_free_vgpr 50
		.amdhsa_next_free_sgpr 68
		.amdhsa_named_barrier_count 0
		.amdhsa_reserve_vcc 1
		.amdhsa_float_round_mode_32 0
		.amdhsa_float_round_mode_16_64 0
		.amdhsa_float_denorm_mode_32 3
		.amdhsa_float_denorm_mode_16_64 3
		.amdhsa_fp16_overflow 0
		.amdhsa_memory_ordered 1
		.amdhsa_forward_progress 1
		.amdhsa_inst_pref_size 107
		.amdhsa_round_robin_scheduling 0
		.amdhsa_exception_fp_ieee_invalid_op 0
		.amdhsa_exception_fp_denorm_src 0
		.amdhsa_exception_fp_ieee_div_zero 0
		.amdhsa_exception_fp_ieee_overflow 0
		.amdhsa_exception_fp_ieee_underflow 0
		.amdhsa_exception_fp_ieee_inexact 0
		.amdhsa_exception_int_div_zero 0
	.end_amdhsa_kernel
	.section	.text._ZN2at6native12_GLOBAL__N_124adaptiveaveragegradinputIN3c104HalfEfEEvPT_PKS5_iiiiiil,"axG",@progbits,_ZN2at6native12_GLOBAL__N_124adaptiveaveragegradinputIN3c104HalfEfEEvPT_PKS5_iiiiiil,comdat
.Lfunc_end10:
	.size	_ZN2at6native12_GLOBAL__N_124adaptiveaveragegradinputIN3c104HalfEfEEvPT_PKS5_iiiiiil, .Lfunc_end10-_ZN2at6native12_GLOBAL__N_124adaptiveaveragegradinputIN3c104HalfEfEEvPT_PKS5_iiiiiil
                                        ; -- End function
	.set _ZN2at6native12_GLOBAL__N_124adaptiveaveragegradinputIN3c104HalfEfEEvPT_PKS5_iiiiiil.num_vgpr, 50
	.set _ZN2at6native12_GLOBAL__N_124adaptiveaveragegradinputIN3c104HalfEfEEvPT_PKS5_iiiiiil.num_agpr, 0
	.set _ZN2at6native12_GLOBAL__N_124adaptiveaveragegradinputIN3c104HalfEfEEvPT_PKS5_iiiiiil.numbered_sgpr, 68
	.set _ZN2at6native12_GLOBAL__N_124adaptiveaveragegradinputIN3c104HalfEfEEvPT_PKS5_iiiiiil.num_named_barrier, 0
	.set _ZN2at6native12_GLOBAL__N_124adaptiveaveragegradinputIN3c104HalfEfEEvPT_PKS5_iiiiiil.private_seg_size, 0
	.set _ZN2at6native12_GLOBAL__N_124adaptiveaveragegradinputIN3c104HalfEfEEvPT_PKS5_iiiiiil.uses_vcc, 1
	.set _ZN2at6native12_GLOBAL__N_124adaptiveaveragegradinputIN3c104HalfEfEEvPT_PKS5_iiiiiil.uses_flat_scratch, 0
	.set _ZN2at6native12_GLOBAL__N_124adaptiveaveragegradinputIN3c104HalfEfEEvPT_PKS5_iiiiiil.has_dyn_sized_stack, 0
	.set _ZN2at6native12_GLOBAL__N_124adaptiveaveragegradinputIN3c104HalfEfEEvPT_PKS5_iiiiiil.has_recursion, 0
	.set _ZN2at6native12_GLOBAL__N_124adaptiveaveragegradinputIN3c104HalfEfEEvPT_PKS5_iiiiiil.has_indirect_call, 0
	.section	.AMDGPU.csdata,"",@progbits
; Kernel info:
; codeLenInByte = 13632
; TotalNumSgprs: 70
; NumVgprs: 50
; ScratchSize: 0
; MemoryBound: 0
; FloatMode: 240
; IeeeMode: 1
; LDSByteSize: 0 bytes/workgroup (compile time only)
; SGPRBlocks: 0
; VGPRBlocks: 3
; NumSGPRsForWavesPerEU: 70
; NumVGPRsForWavesPerEU: 50
; NamedBarCnt: 0
; Occupancy: 16
; WaveLimiterHint : 0
; COMPUTE_PGM_RSRC2:SCRATCH_EN: 0
; COMPUTE_PGM_RSRC2:USER_SGPR: 2
; COMPUTE_PGM_RSRC2:TRAP_HANDLER: 0
; COMPUTE_PGM_RSRC2:TGID_X_EN: 1
; COMPUTE_PGM_RSRC2:TGID_Y_EN: 1
; COMPUTE_PGM_RSRC2:TGID_Z_EN: 0
; COMPUTE_PGM_RSRC2:TIDIG_COMP_CNT: 1
	.section	.text._ZN2at6native12_GLOBAL__N_124adaptiveaveragegradinputIN3c108BFloat16EfEEvPT_PKS5_iiiiiil,"axG",@progbits,_ZN2at6native12_GLOBAL__N_124adaptiveaveragegradinputIN3c108BFloat16EfEEvPT_PKS5_iiiiiil,comdat
	.globl	_ZN2at6native12_GLOBAL__N_124adaptiveaveragegradinputIN3c108BFloat16EfEEvPT_PKS5_iiiiiil ; -- Begin function _ZN2at6native12_GLOBAL__N_124adaptiveaveragegradinputIN3c108BFloat16EfEEvPT_PKS5_iiiiiil
	.p2align	8
	.type	_ZN2at6native12_GLOBAL__N_124adaptiveaveragegradinputIN3c108BFloat16EfEEvPT_PKS5_iiiiiil,@function
_ZN2at6native12_GLOBAL__N_124adaptiveaveragegradinputIN3c108BFloat16EfEEvPT_PKS5_iiiiiil: ; @_ZN2at6native12_GLOBAL__N_124adaptiveaveragegradinputIN3c108BFloat16EfEEvPT_PKS5_iiiiiil
; %bb.0:
	s_load_b256 s[4:11], s[0:1], 0x10
	s_bfe_u32 s2, ttmp6, 0x4000c
	s_and_b32 s3, ttmp6, 15
	s_add_co_i32 s2, s2, 1
	s_getreg_b32 s26, hwreg(HW_REG_IB_STS2, 6, 4)
	s_mul_i32 s2, ttmp9, s2
	s_mov_b32 s13, 0
	s_add_co_i32 s3, s3, s2
	s_cmp_eq_u32 s26, 0
	s_cselect_b32 s12, ttmp9, s3
	s_wait_kmcnt 0x0
	s_add_nc_u64 s[2:3], s[10:11], s[12:13]
	s_ashr_i32 s11, s4, 31
	s_mov_b32 s10, s4
	s_delay_alu instid0(SALU_CYCLE_1) | instskip(NEXT) | instid1(SALU_CYCLE_1)
	s_or_b64 s[14:15], s[2:3], s[10:11]
	s_and_b64 s[14:15], s[14:15], 0xffffffff00000000
	s_delay_alu instid0(SALU_CYCLE_1)
	s_cmp_lg_u64 s[14:15], 0
	s_cbranch_scc0 .LBB11_85
; %bb.1:
	s_ashr_i32 s14, s11, 31
	s_delay_alu instid0(SALU_CYCLE_1) | instskip(NEXT) | instid1(SALU_CYCLE_1)
	s_mov_b32 s15, s14
	s_add_nc_u64 s[16:17], s[10:11], s[14:15]
	s_delay_alu instid0(SALU_CYCLE_1) | instskip(NEXT) | instid1(SALU_CYCLE_1)
	s_xor_b64 s[16:17], s[16:17], s[14:15]
	s_cvt_f32_u32 s4, s16
	s_cvt_f32_u32 s12, s17
	s_sub_nc_u64 s[20:21], 0, s[16:17]
	s_delay_alu instid0(SALU_CYCLE_2) | instskip(NEXT) | instid1(SALU_CYCLE_3)
	s_fmamk_f32 s4, s12, 0x4f800000, s4
	v_s_rcp_f32 s4, s4
	s_delay_alu instid0(TRANS32_DEP_1) | instskip(NEXT) | instid1(SALU_CYCLE_3)
	s_mul_f32 s4, s4, 0x5f7ffffc
	s_mul_f32 s12, s4, 0x2f800000
	s_delay_alu instid0(SALU_CYCLE_3) | instskip(NEXT) | instid1(SALU_CYCLE_3)
	s_trunc_f32 s12, s12
	s_fmamk_f32 s4, s12, 0xcf800000, s4
	s_cvt_u32_f32 s19, s12
	s_delay_alu instid0(SALU_CYCLE_2) | instskip(NEXT) | instid1(SALU_CYCLE_3)
	s_cvt_u32_f32 s18, s4
	s_mul_u64 s[22:23], s[20:21], s[18:19]
	s_delay_alu instid0(SALU_CYCLE_1)
	s_mul_hi_u32 s25, s18, s23
	s_mul_i32 s24, s18, s23
	s_mul_hi_u32 s12, s18, s22
	s_mul_i32 s27, s19, s22
	s_add_nc_u64 s[24:25], s[12:13], s[24:25]
	s_mul_hi_u32 s4, s19, s22
	s_mul_hi_u32 s28, s19, s23
	s_add_co_u32 s12, s24, s27
	s_add_co_ci_u32 s12, s25, s4
	s_mul_i32 s22, s19, s23
	s_add_co_ci_u32 s23, s28, 0
	s_delay_alu instid0(SALU_CYCLE_1) | instskip(NEXT) | instid1(SALU_CYCLE_1)
	s_add_nc_u64 s[22:23], s[12:13], s[22:23]
	s_add_co_u32 s18, s18, s22
	s_cselect_b32 s4, -1, 0
	s_delay_alu instid0(SALU_CYCLE_1) | instskip(SKIP_1) | instid1(SALU_CYCLE_1)
	s_cmp_lg_u32 s4, 0
	s_add_co_ci_u32 s19, s19, s23
	s_mul_u64 s[20:21], s[20:21], s[18:19]
	s_delay_alu instid0(SALU_CYCLE_1)
	s_mul_hi_u32 s23, s18, s21
	s_mul_i32 s22, s18, s21
	s_mul_hi_u32 s12, s18, s20
	s_mul_i32 s24, s19, s20
	s_add_nc_u64 s[22:23], s[12:13], s[22:23]
	s_mul_hi_u32 s4, s19, s20
	s_mul_hi_u32 s25, s19, s21
	s_add_co_u32 s12, s22, s24
	s_add_co_ci_u32 s12, s23, s4
	s_mul_i32 s20, s19, s21
	s_add_co_ci_u32 s21, s25, 0
	s_delay_alu instid0(SALU_CYCLE_1) | instskip(NEXT) | instid1(SALU_CYCLE_1)
	s_add_nc_u64 s[20:21], s[12:13], s[20:21]
	s_add_co_u32 s4, s18, s20
	s_cselect_b32 s12, -1, 0
	s_delay_alu instid0(SALU_CYCLE_1) | instskip(SKIP_2) | instid1(SALU_CYCLE_1)
	s_cmp_lg_u32 s12, 0
	s_add_co_ci_u32 s24, s19, s21
	s_ashr_i32 s18, s3, 31
	s_mov_b32 s19, s18
	s_delay_alu instid0(SALU_CYCLE_1) | instskip(NEXT) | instid1(SALU_CYCLE_1)
	s_add_nc_u64 s[20:21], s[2:3], s[18:19]
	s_xor_b64 s[20:21], s[20:21], s[18:19]
	s_delay_alu instid0(SALU_CYCLE_1)
	s_mul_hi_u32 s23, s20, s24
	s_mul_i32 s22, s20, s24
	s_mul_hi_u32 s12, s20, s4
	s_mul_hi_u32 s27, s21, s4
	s_mul_i32 s4, s21, s4
	s_add_nc_u64 s[22:23], s[12:13], s[22:23]
	s_mul_hi_u32 s25, s21, s24
	s_add_co_u32 s4, s22, s4
	s_add_co_ci_u32 s12, s23, s27
	s_mul_i32 s24, s21, s24
	s_add_co_ci_u32 s25, s25, 0
	s_delay_alu instid0(SALU_CYCLE_1) | instskip(NEXT) | instid1(SALU_CYCLE_1)
	s_add_nc_u64 s[22:23], s[12:13], s[24:25]
	s_and_b64 s[24:25], s[22:23], 0xffffffff00000000
	s_delay_alu instid0(SALU_CYCLE_1) | instskip(NEXT) | instid1(SALU_CYCLE_1)
	s_or_b32 s24, s24, s22
	s_mul_u64 s[22:23], s[16:17], s[24:25]
	s_add_nc_u64 s[28:29], s[24:25], 1
	s_sub_co_u32 s4, s20, s22
	s_cselect_b32 s12, -1, 0
	s_sub_co_i32 s20, s21, s23
	s_cmp_lg_u32 s12, 0
	s_add_nc_u64 s[30:31], s[24:25], 2
	s_sub_co_ci_u32 s20, s20, s17
	s_sub_co_u32 s22, s4, s16
	s_cselect_b32 s27, -1, 0
	s_delay_alu instid0(SALU_CYCLE_1) | instskip(SKIP_1) | instid1(SALU_CYCLE_1)
	s_cmp_lg_u32 s27, 0
	s_sub_co_ci_u32 s20, s20, 0
	s_cmp_ge_u32 s20, s17
	s_cselect_b32 s27, -1, 0
	s_cmp_ge_u32 s22, s16
	s_cselect_b32 s22, -1, 0
	s_cmp_eq_u32 s20, s17
	s_cselect_b32 s20, s22, s27
	s_delay_alu instid0(SALU_CYCLE_1) | instskip(SKIP_4) | instid1(SALU_CYCLE_1)
	s_cmp_lg_u32 s20, 0
	s_cselect_b32 s20, s30, s28
	s_cselect_b32 s22, s31, s29
	s_cmp_lg_u32 s12, 0
	s_sub_co_ci_u32 s12, s21, s23
	s_cmp_ge_u32 s12, s17
	s_cselect_b32 s21, -1, 0
	s_cmp_ge_u32 s4, s16
	s_cselect_b32 s4, -1, 0
	s_cmp_eq_u32 s12, s17
	s_cselect_b32 s4, s4, s21
	s_delay_alu instid0(SALU_CYCLE_1) | instskip(SKIP_3) | instid1(SALU_CYCLE_1)
	s_cmp_lg_u32 s4, 0
	s_cselect_b32 s17, s22, s25
	s_cselect_b32 s16, s20, s24
	s_xor_b64 s[14:15], s[18:19], s[14:15]
	s_xor_b64 s[16:17], s[16:17], s[14:15]
	s_delay_alu instid0(SALU_CYCLE_1)
	s_sub_nc_u64 s[14:15], s[16:17], s[14:15]
	v_cvt_f32_u32_e32 v1, s10
	s_and_not1_b32 vcc_lo, exec_lo, s13
	s_cbranch_vccnz .LBB11_3
.LBB11_2:
	s_delay_alu instid0(VALU_DEP_1) | instskip(SKIP_3) | instid1(TRANS32_DEP_1)
	v_rcp_iflag_f32_e32 v2, v1
	s_sub_co_i32 s12, 0, s10
	s_mov_b32 s15, 0
	v_nop
	v_mul_f32_e32 v2, 0x4f7ffffe, v2
	s_delay_alu instid0(VALU_DEP_1) | instskip(NEXT) | instid1(VALU_DEP_1)
	v_cvt_u32_f32_e32 v2, v2
	v_readfirstlane_b32 s4, v2
	s_mul_i32 s12, s12, s4
	s_delay_alu instid0(SALU_CYCLE_1) | instskip(NEXT) | instid1(SALU_CYCLE_1)
	s_mul_hi_u32 s12, s4, s12
	s_add_co_i32 s4, s4, s12
	s_delay_alu instid0(SALU_CYCLE_1) | instskip(NEXT) | instid1(SALU_CYCLE_1)
	s_mul_hi_u32 s4, s2, s4
	s_mul_i32 s12, s4, s10
	s_add_co_i32 s13, s4, 1
	s_sub_co_i32 s12, s2, s12
	s_delay_alu instid0(SALU_CYCLE_1)
	s_sub_co_i32 s14, s12, s10
	s_cmp_ge_u32 s12, s10
	s_cselect_b32 s4, s13, s4
	s_cselect_b32 s12, s14, s12
	s_add_co_i32 s13, s4, 1
	s_cmp_ge_u32 s12, s10
	s_cselect_b32 s14, s13, s4
.LBB11_3:
	s_abs_i32 s4, s10
	s_mov_b32 s23, 0
	s_cvt_f32_u32 s12, s4
	s_sub_co_i32 s16, 0, s4
	s_delay_alu instid0(SALU_CYCLE_2) | instskip(SKIP_1) | instid1(TRANS32_DEP_1)
	v_rcp_iflag_f32_e32 v2, s12
	v_nop
	v_readfirstlane_b32 s12, v2
	s_mul_f32 s12, s12, 0x4f7ffffe
	s_delay_alu instid0(SALU_CYCLE_3) | instskip(SKIP_1) | instid1(SALU_CYCLE_2)
	s_cvt_u32_f32 s18, s12
	s_mul_u64 s[12:13], s[14:15], s[10:11]
	s_mul_i32 s15, s16, s18
	s_sub_nc_u64 s[16:17], s[2:3], s[12:13]
	s_mul_hi_u32 s12, s18, s15
	s_abs_i32 s15, s16
	s_add_co_i32 s18, s18, s12
	s_ashr_i32 s13, s7, 31
	s_mul_hi_u32 s12, s15, s18
	s_xor_b32 s18, s16, s10
	s_mul_i32 s19, s12, s4
	s_ashr_i32 s18, s18, 31
	s_sub_co_i32 s15, s15, s19
	s_add_co_i32 s19, s12, 1
	s_sub_co_i32 s20, s15, s4
	s_cmp_ge_u32 s15, s4
	s_cselect_b32 s12, s19, s12
	s_cselect_b32 s15, s20, s15
	s_add_co_i32 s19, s12, 1
	s_cmp_ge_u32 s15, s4
	s_cselect_b32 s4, s19, s12
	s_delay_alu instid0(SALU_CYCLE_1) | instskip(NEXT) | instid1(SALU_CYCLE_1)
	s_xor_b32 s4, s4, s18
	s_sub_co_i32 s4, s4, s18
	s_delay_alu instid0(SALU_CYCLE_1) | instskip(NEXT) | instid1(SALU_CYCLE_1)
	s_mul_i32 s12, s4, s10
	s_sub_co_i32 s18, s16, s12
	s_mov_b32 s12, s7
	s_ashr_i32 s19, s18, 31
	s_delay_alu instid0(SALU_CYCLE_1) | instskip(NEXT) | instid1(SALU_CYCLE_1)
	s_mul_u64 s[18:19], s[18:19], s[12:13]
	s_or_b64 s[20:21], s[18:19], s[10:11]
	s_delay_alu instid0(SALU_CYCLE_1) | instskip(NEXT) | instid1(SALU_CYCLE_1)
	s_and_b64 s[20:21], s[20:21], 0xffffffff00000000
	s_cmp_lg_u64 s[20:21], 0
	s_cbranch_scc0 .LBB11_86
; %bb.4:
	s_ashr_i32 s20, s11, 31
	s_delay_alu instid0(SALU_CYCLE_1) | instskip(NEXT) | instid1(SALU_CYCLE_1)
	s_mov_b32 s21, s20
	s_add_nc_u64 s[24:25], s[10:11], s[20:21]
	s_delay_alu instid0(SALU_CYCLE_1) | instskip(NEXT) | instid1(SALU_CYCLE_1)
	s_xor_b64 s[24:25], s[24:25], s[20:21]
	s_cvt_f32_u32 s15, s24
	s_cvt_f32_u32 s22, s25
	s_sub_nc_u64 s[30:31], 0, s[24:25]
	s_delay_alu instid0(SALU_CYCLE_2) | instskip(NEXT) | instid1(SALU_CYCLE_3)
	s_fmamk_f32 s15, s22, 0x4f800000, s15
	v_s_rcp_f32 s15, s15
	s_delay_alu instid0(TRANS32_DEP_1) | instskip(NEXT) | instid1(SALU_CYCLE_3)
	s_mul_f32 s15, s15, 0x5f7ffffc
	s_mul_f32 s22, s15, 0x2f800000
	s_delay_alu instid0(SALU_CYCLE_3) | instskip(NEXT) | instid1(SALU_CYCLE_3)
	s_trunc_f32 s22, s22
	s_fmamk_f32 s15, s22, 0xcf800000, s15
	s_cvt_u32_f32 s29, s22
	s_delay_alu instid0(SALU_CYCLE_2) | instskip(NEXT) | instid1(SALU_CYCLE_3)
	s_cvt_u32_f32 s28, s15
	s_mul_u64 s[34:35], s[30:31], s[28:29]
	s_delay_alu instid0(SALU_CYCLE_1)
	s_mul_hi_u32 s37, s28, s35
	s_mul_i32 s36, s28, s35
	s_mul_hi_u32 s22, s28, s34
	s_mul_i32 s27, s29, s34
	s_add_nc_u64 s[36:37], s[22:23], s[36:37]
	s_mul_hi_u32 s15, s29, s34
	s_mul_hi_u32 s33, s29, s35
	s_add_co_u32 s22, s36, s27
	s_add_co_ci_u32 s22, s37, s15
	s_mul_i32 s34, s29, s35
	s_add_co_ci_u32 s35, s33, 0
	s_delay_alu instid0(SALU_CYCLE_1) | instskip(NEXT) | instid1(SALU_CYCLE_1)
	s_add_nc_u64 s[34:35], s[22:23], s[34:35]
	s_add_co_u32 s28, s28, s34
	s_cselect_b32 s15, -1, 0
	s_delay_alu instid0(SALU_CYCLE_1) | instskip(SKIP_1) | instid1(SALU_CYCLE_1)
	s_cmp_lg_u32 s15, 0
	s_add_co_ci_u32 s29, s29, s35
	s_mul_u64 s[30:31], s[30:31], s[28:29]
	s_delay_alu instid0(SALU_CYCLE_1)
	s_mul_hi_u32 s35, s28, s31
	s_mul_i32 s34, s28, s31
	s_mul_hi_u32 s22, s28, s30
	s_mul_i32 s27, s29, s30
	s_add_nc_u64 s[34:35], s[22:23], s[34:35]
	s_mul_hi_u32 s15, s29, s30
	s_mul_hi_u32 s33, s29, s31
	s_add_co_u32 s22, s34, s27
	s_add_co_ci_u32 s22, s35, s15
	s_mul_i32 s30, s29, s31
	s_add_co_ci_u32 s31, s33, 0
	s_delay_alu instid0(SALU_CYCLE_1) | instskip(NEXT) | instid1(SALU_CYCLE_1)
	s_add_nc_u64 s[30:31], s[22:23], s[30:31]
	s_add_co_u32 s15, s28, s30
	s_cselect_b32 s22, -1, 0
	s_delay_alu instid0(SALU_CYCLE_1) | instskip(SKIP_2) | instid1(SALU_CYCLE_1)
	s_cmp_lg_u32 s22, 0
	s_add_co_ci_u32 s27, s29, s31
	s_ashr_i32 s28, s19, 31
	s_mov_b32 s29, s28
	s_delay_alu instid0(SALU_CYCLE_1) | instskip(NEXT) | instid1(SALU_CYCLE_1)
	s_add_nc_u64 s[30:31], s[18:19], s[28:29]
	s_xor_b64 s[30:31], s[30:31], s[28:29]
	s_delay_alu instid0(SALU_CYCLE_1)
	s_mul_hi_u32 s35, s30, s27
	s_mul_i32 s34, s30, s27
	s_mul_hi_u32 s22, s30, s15
	s_mul_hi_u32 s33, s31, s15
	s_mul_i32 s15, s31, s15
	s_add_nc_u64 s[34:35], s[22:23], s[34:35]
	s_mul_hi_u32 s19, s31, s27
	s_add_co_u32 s15, s34, s15
	s_add_co_ci_u32 s22, s35, s33
	s_mul_i32 s36, s31, s27
	s_add_co_ci_u32 s37, s19, 0
	s_delay_alu instid0(SALU_CYCLE_1) | instskip(NEXT) | instid1(SALU_CYCLE_1)
	s_add_nc_u64 s[34:35], s[22:23], s[36:37]
	s_and_b64 s[36:37], s[34:35], 0xffffffff00000000
	s_delay_alu instid0(SALU_CYCLE_1) | instskip(NEXT) | instid1(SALU_CYCLE_1)
	s_or_b32 s36, s36, s34
	s_mul_u64 s[34:35], s[24:25], s[36:37]
	s_add_nc_u64 s[38:39], s[36:37], 1
	s_sub_co_u32 s15, s30, s34
	s_cselect_b32 s19, -1, 0
	s_sub_co_i32 s22, s31, s35
	s_cmp_lg_u32 s19, 0
	s_add_nc_u64 s[40:41], s[36:37], 2
	s_sub_co_ci_u32 s22, s22, s25
	s_sub_co_u32 s27, s15, s24
	s_cselect_b32 s30, -1, 0
	s_delay_alu instid0(SALU_CYCLE_1) | instskip(SKIP_1) | instid1(SALU_CYCLE_1)
	s_cmp_lg_u32 s30, 0
	s_sub_co_ci_u32 s22, s22, 0
	s_cmp_ge_u32 s22, s25
	s_cselect_b32 s30, -1, 0
	s_cmp_ge_u32 s27, s24
	s_cselect_b32 s27, -1, 0
	s_cmp_eq_u32 s22, s25
	s_cselect_b32 s22, s27, s30
	s_delay_alu instid0(SALU_CYCLE_1) | instskip(SKIP_4) | instid1(SALU_CYCLE_1)
	s_cmp_lg_u32 s22, 0
	s_cselect_b32 s22, s40, s38
	s_cselect_b32 s27, s41, s39
	s_cmp_lg_u32 s19, 0
	s_sub_co_ci_u32 s19, s31, s35
	s_cmp_ge_u32 s19, s25
	s_cselect_b32 s30, -1, 0
	s_cmp_ge_u32 s15, s24
	s_cselect_b32 s15, -1, 0
	s_cmp_eq_u32 s19, s25
	s_cselect_b32 s15, s15, s30
	s_delay_alu instid0(SALU_CYCLE_1) | instskip(SKIP_3) | instid1(SALU_CYCLE_1)
	s_cmp_lg_u32 s15, 0
	s_cselect_b32 s25, s27, s37
	s_cselect_b32 s24, s22, s36
	s_xor_b64 s[20:21], s[28:29], s[20:21]
	s_xor_b64 s[24:25], s[24:25], s[20:21]
	s_delay_alu instid0(SALU_CYCLE_1)
	s_sub_nc_u64 s[20:21], s[24:25], s[20:21]
	s_and_not1_b32 vcc_lo, exec_lo, s23
	s_cbranch_vccnz .LBB11_6
.LBB11_5:
	v_rcp_iflag_f32_e32 v2, v1
	s_sub_co_i32 s19, 0, s10
	v_nop
	s_delay_alu instid0(TRANS32_DEP_1) | instskip(NEXT) | instid1(VALU_DEP_1)
	v_mul_f32_e32 v2, 0x4f7ffffe, v2
	v_cvt_u32_f32_e32 v2, v2
	s_delay_alu instid0(VALU_DEP_1) | instskip(SKIP_1) | instid1(SALU_CYCLE_1)
	v_readfirstlane_b32 s15, v2
	s_mul_i32 s19, s19, s15
	s_mul_hi_u32 s19, s15, s19
	s_delay_alu instid0(SALU_CYCLE_1) | instskip(NEXT) | instid1(SALU_CYCLE_1)
	s_add_co_i32 s15, s15, s19
	s_mul_hi_u32 s15, s18, s15
	s_delay_alu instid0(SALU_CYCLE_1) | instskip(NEXT) | instid1(SALU_CYCLE_1)
	s_mul_i32 s19, s15, s10
	s_sub_co_i32 s18, s18, s19
	s_add_co_i32 s19, s15, 1
	s_sub_co_i32 s20, s18, s10
	s_cmp_ge_u32 s18, s10
	s_cselect_b32 s15, s19, s15
	s_cselect_b32 s18, s20, s18
	s_add_co_i32 s19, s15, 1
	s_cmp_ge_u32 s18, s10
	s_cselect_b32 s20, s19, s15
.LBB11_6:
	s_add_nc_u64 s[16:17], s[16:17], 1
	s_delay_alu instid0(SALU_CYCLE_1) | instskip(NEXT) | instid1(SALU_CYCLE_1)
	s_mul_u64 s[16:17], s[16:17], s[12:13]
	s_add_nc_u64 s[16:17], s[16:17], -1
	s_delay_alu instid0(SALU_CYCLE_1) | instskip(NEXT) | instid1(SALU_CYCLE_1)
	s_or_b64 s[18:19], s[16:17], s[10:11]
	s_and_b64 s[18:19], s[18:19], 0xffffffff00000000
	s_delay_alu instid0(SALU_CYCLE_1)
	s_cmp_lg_u64 s[18:19], 0
	s_cbranch_scc0 .LBB11_87
; %bb.7:
	s_ashr_i32 s18, s11, 31
	s_delay_alu instid0(SALU_CYCLE_1) | instskip(NEXT) | instid1(SALU_CYCLE_1)
	s_mov_b32 s19, s18
	s_add_nc_u64 s[22:23], s[10:11], s[18:19]
	s_delay_alu instid0(SALU_CYCLE_1) | instskip(SKIP_4) | instid1(SALU_CYCLE_2)
	s_xor_b64 s[24:25], s[22:23], s[18:19]
	s_mov_b32 s23, 0
	s_cvt_f32_u32 s15, s24
	s_cvt_f32_u32 s21, s25
	s_sub_nc_u64 s[30:31], 0, s[24:25]
	s_fmamk_f32 s15, s21, 0x4f800000, s15
	s_delay_alu instid0(SALU_CYCLE_3) | instskip(NEXT) | instid1(TRANS32_DEP_1)
	v_s_rcp_f32 s15, s15
	s_mul_f32 s15, s15, 0x5f7ffffc
	s_delay_alu instid0(SALU_CYCLE_3) | instskip(NEXT) | instid1(SALU_CYCLE_3)
	s_mul_f32 s21, s15, 0x2f800000
	s_trunc_f32 s21, s21
	s_delay_alu instid0(SALU_CYCLE_3) | instskip(SKIP_1) | instid1(SALU_CYCLE_2)
	s_fmamk_f32 s15, s21, 0xcf800000, s15
	s_cvt_u32_f32 s29, s21
	s_cvt_u32_f32 s28, s15
	s_delay_alu instid0(SALU_CYCLE_3) | instskip(NEXT) | instid1(SALU_CYCLE_1)
	s_mul_u64 s[34:35], s[30:31], s[28:29]
	s_mul_hi_u32 s37, s28, s35
	s_mul_i32 s36, s28, s35
	s_mul_hi_u32 s22, s28, s34
	s_mul_i32 s21, s29, s34
	s_add_nc_u64 s[36:37], s[22:23], s[36:37]
	s_mul_hi_u32 s15, s29, s34
	s_mul_hi_u32 s27, s29, s35
	s_add_co_u32 s21, s36, s21
	s_add_co_ci_u32 s22, s37, s15
	s_mul_i32 s34, s29, s35
	s_add_co_ci_u32 s35, s27, 0
	s_delay_alu instid0(SALU_CYCLE_1) | instskip(NEXT) | instid1(SALU_CYCLE_1)
	s_add_nc_u64 s[34:35], s[22:23], s[34:35]
	s_add_co_u32 s28, s28, s34
	s_cselect_b32 s15, -1, 0
	s_delay_alu instid0(SALU_CYCLE_1) | instskip(SKIP_1) | instid1(SALU_CYCLE_1)
	s_cmp_lg_u32 s15, 0
	s_add_co_ci_u32 s29, s29, s35
	s_mul_u64 s[30:31], s[30:31], s[28:29]
	s_delay_alu instid0(SALU_CYCLE_1)
	s_mul_hi_u32 s35, s28, s31
	s_mul_i32 s34, s28, s31
	s_mul_hi_u32 s22, s28, s30
	s_mul_i32 s21, s29, s30
	s_add_nc_u64 s[34:35], s[22:23], s[34:35]
	s_mul_hi_u32 s15, s29, s30
	s_mul_hi_u32 s27, s29, s31
	s_add_co_u32 s21, s34, s21
	s_add_co_ci_u32 s22, s35, s15
	s_mul_i32 s30, s29, s31
	s_add_co_ci_u32 s31, s27, 0
	s_delay_alu instid0(SALU_CYCLE_1) | instskip(NEXT) | instid1(SALU_CYCLE_1)
	s_add_nc_u64 s[30:31], s[22:23], s[30:31]
	s_add_co_u32 s15, s28, s30
	s_cselect_b32 s21, -1, 0
	s_delay_alu instid0(SALU_CYCLE_1) | instskip(SKIP_2) | instid1(SALU_CYCLE_1)
	s_cmp_lg_u32 s21, 0
	s_add_co_ci_u32 s21, s29, s31
	s_ashr_i32 s28, s17, 31
	s_mov_b32 s29, s28
	s_delay_alu instid0(SALU_CYCLE_1) | instskip(NEXT) | instid1(SALU_CYCLE_1)
	s_add_nc_u64 s[30:31], s[16:17], s[28:29]
	s_xor_b64 s[30:31], s[30:31], s[28:29]
	s_delay_alu instid0(SALU_CYCLE_1)
	s_mul_hi_u32 s35, s30, s21
	s_mul_i32 s34, s30, s21
	s_mul_hi_u32 s22, s30, s15
	s_mul_hi_u32 s27, s31, s15
	s_mul_i32 s15, s31, s15
	s_add_nc_u64 s[34:35], s[22:23], s[34:35]
	s_mul_hi_u32 s17, s31, s21
	s_add_co_u32 s15, s34, s15
	s_add_co_ci_u32 s22, s35, s27
	s_mul_i32 s36, s31, s21
	s_add_co_ci_u32 s37, s17, 0
	s_delay_alu instid0(SALU_CYCLE_1) | instskip(NEXT) | instid1(SALU_CYCLE_1)
	s_add_nc_u64 s[34:35], s[22:23], s[36:37]
	s_and_b64 s[36:37], s[34:35], 0xffffffff00000000
	s_delay_alu instid0(SALU_CYCLE_1) | instskip(NEXT) | instid1(SALU_CYCLE_1)
	s_or_b32 s36, s36, s34
	s_mul_u64 s[34:35], s[24:25], s[36:37]
	s_add_nc_u64 s[38:39], s[36:37], 1
	s_sub_co_u32 s15, s30, s34
	s_cselect_b32 s17, -1, 0
	s_sub_co_i32 s21, s31, s35
	s_cmp_lg_u32 s17, 0
	s_add_nc_u64 s[40:41], s[36:37], 2
	s_sub_co_ci_u32 s21, s21, s25
	s_sub_co_u32 s22, s15, s24
	s_cselect_b32 s27, -1, 0
	s_delay_alu instid0(SALU_CYCLE_1) | instskip(SKIP_1) | instid1(SALU_CYCLE_1)
	s_cmp_lg_u32 s27, 0
	s_sub_co_ci_u32 s21, s21, 0
	s_cmp_ge_u32 s21, s25
	s_cselect_b32 s27, -1, 0
	s_cmp_ge_u32 s22, s24
	s_cselect_b32 s22, -1, 0
	s_cmp_eq_u32 s21, s25
	s_cselect_b32 s21, s22, s27
	s_delay_alu instid0(SALU_CYCLE_1) | instskip(SKIP_4) | instid1(SALU_CYCLE_1)
	s_cmp_lg_u32 s21, 0
	s_cselect_b32 s21, s40, s38
	s_cselect_b32 s22, s41, s39
	s_cmp_lg_u32 s17, 0
	s_sub_co_ci_u32 s17, s31, s35
	s_cmp_ge_u32 s17, s25
	s_cselect_b32 s27, -1, 0
	s_cmp_ge_u32 s15, s24
	s_cselect_b32 s15, -1, 0
	s_cmp_eq_u32 s17, s25
	s_cselect_b32 s15, s15, s27
	s_delay_alu instid0(SALU_CYCLE_1) | instskip(SKIP_3) | instid1(SALU_CYCLE_1)
	s_cmp_lg_u32 s15, 0
	s_cselect_b32 s25, s22, s37
	s_cselect_b32 s24, s21, s36
	s_xor_b64 s[18:19], s[28:29], s[18:19]
	s_xor_b64 s[24:25], s[24:25], s[18:19]
	s_delay_alu instid0(SALU_CYCLE_1)
	s_sub_nc_u64 s[24:25], s[24:25], s[18:19]
	s_load_b32 s21, s[0:1], 0x3c
	s_cbranch_execnz .LBB11_9
.LBB11_8:
	v_rcp_iflag_f32_e32 v1, v1
	s_sub_co_i32 s17, 0, s10
	v_nop
	s_delay_alu instid0(TRANS32_DEP_1) | instskip(NEXT) | instid1(VALU_DEP_1)
	v_mul_f32_e32 v1, 0x4f7ffffe, v1
	v_cvt_u32_f32_e32 v1, v1
	s_delay_alu instid0(VALU_DEP_1) | instskip(SKIP_1) | instid1(SALU_CYCLE_1)
	v_readfirstlane_b32 s15, v1
	s_mul_i32 s17, s17, s15
	s_mul_hi_u32 s17, s15, s17
	s_delay_alu instid0(SALU_CYCLE_1) | instskip(NEXT) | instid1(SALU_CYCLE_1)
	s_add_co_i32 s15, s15, s17
	s_mul_hi_u32 s15, s16, s15
	s_delay_alu instid0(SALU_CYCLE_1) | instskip(NEXT) | instid1(SALU_CYCLE_1)
	s_mul_i32 s17, s15, s10
	s_sub_co_i32 s16, s16, s17
	s_add_co_i32 s17, s15, 1
	s_sub_co_i32 s18, s16, s10
	s_cmp_ge_u32 s16, s10
	s_cselect_b32 s15, s17, s15
	s_cselect_b32 s16, s18, s16
	s_add_co_i32 s17, s15, 1
	s_cmp_ge_u32 s16, s10
	s_cselect_b32 s24, s17, s15
.LBB11_9:
	s_bfe_u32 s15, ttmp6, 0x40010
	s_bfe_u32 s16, ttmp6, 0x40004
	s_add_co_i32 s15, s15, 1
	s_wait_kmcnt 0x0
	s_lshr_b32 s28, s21, 16
	s_mul_i32 s15, ttmp7, s15
	v_bfe_u32 v1, v0, 10, 10
	s_add_co_i32 s16, s16, s15
	s_cmp_eq_u32 s26, 0
	s_cselect_b32 s15, ttmp7, s16
	s_mov_b32 s16, exec_lo
	v_mad_u32 v2, s15, s28, v1
	s_mov_b32 s15, 0
	s_delay_alu instid0(VALU_DEP_1)
	v_cmpx_gt_i32_e64 s5, v2
	s_cbranch_execz .LBB11_84
; %bb.10:
	s_mov_b32 s16, s5
	s_ashr_i32 s17, s5, 31
	v_cvt_f32_u32_e32 v1, s16
	s_ashr_i32 s19, s6, 31
	s_mov_b32 s18, s6
	s_mul_i32 s4, s4, s12
	s_mul_u64 s[22:23], s[18:19], s[16:17]
	v_rcp_iflag_f32_e32 v1, v1
	s_add_co_i32 s4, s20, s4
	s_mul_u64 s[2:3], s[22:23], s[2:3]
	s_mul_i32 s7, s7, s14
	s_add_co_i32 s33, s24, 1
	s_lshl_b64 s[2:3], s[2:3], 1
	s_add_co_i32 s14, s7, s4
	v_nop
	v_mul_f32_e32 v1, 0x4f7ffffe, v1
	s_and_b32 s7, s21, 0xffff
	s_ashr_i32 s21, s8, 31
	s_ashr_i32 s23, s9, 31
	v_and_b32_e32 v32, 0x3ff, v0
	v_mov_b32_e32 v0, 0
	v_cvt_u32_f32_e32 v1, v1
	s_cmp_gt_i32 s33, s4
	s_clause 0x1
	s_load_b32 s53, s[0:1], 0x34
	s_load_b128 s[36:39], s[0:1], 0x0
	s_cselect_b32 s50, -1, 0
	s_wait_xcnt 0x0
	s_sub_co_i32 s0, 0, s5
	s_ashr_i32 s51, s5, 31
	v_mul_lo_u32 v4, s0, v1
	s_add_co_i32 s20, s5, s51
	s_mul_i32 s30, s9, s8
	s_xor_b32 s52, s20, s51
	s_mul_i32 s26, s30, s14
	v_cvt_f32_u32_e32 v3, s52
	s_sub_co_i32 s1, 0, s52
	s_ashr_i32 s27, s26, 31
	v_cmp_gt_i32_e64 s0, s6, v32
	s_ashr_i32 s31, s30, 31
	v_rcp_iflag_f32_e32 v3, v3
	v_mul_hi_u32 v4, v1, v4
	s_lshl_b64 s[34:35], s[26:27], 1
	s_mov_b32 s20, s8
	s_mov_b32 s22, s9
	s_mov_b64 s[24:25], 0xffffffff
	s_wait_kmcnt 0x0
	s_add_nc_u64 s[26:27], s[36:37], s[2:3]
	v_mul_f32_e32 v3, 0x4f7ffffe, v3
	s_mul_i32 s53, s53, s28
	s_add_nc_u64 s[28:29], s[38:39], s[34:35]
	s_lshl_b64 s[30:31], s[30:31], 1
	s_ashr_i32 s34, s17, 31
	v_add_nc_u32_e32 v34, v1, v4
	v_cvt_u32_f32_e32 v3, v3
	s_mov_b32 s54, 0
	s_delay_alu instid0(VALU_DEP_1) | instskip(NEXT) | instid1(VALU_DEP_1)
	v_mul_lo_u32 v5, s1, v3
	v_mul_hi_u32 v5, v3, v5
	s_delay_alu instid0(VALU_DEP_1)
	v_add_nc_u32_e32 v33, v3, v5
	s_branch .LBB11_12
.LBB11_11:                              ;   in Loop: Header=BB11_12 Depth=1
	s_or_b32 exec_lo, exec_lo, s35
	v_add_nc_u32_e32 v2, s53, v2
	s_delay_alu instid0(VALU_DEP_1) | instskip(SKIP_1) | instid1(SALU_CYCLE_1)
	v_cmp_le_i32_e32 vcc_lo, s5, v2
	s_or_b32 s54, vcc_lo, s54
	s_and_not1_b32 exec_lo, exec_lo, s54
	s_cbranch_execz .LBB11_84
.LBB11_12:                              ; =>This Loop Header: Depth=1
                                        ;     Child Loop BB11_27 Depth 2
                                        ;       Child Loop BB11_42 Depth 3
                                        ;         Child Loop BB11_54 Depth 4
                                        ;           Child Loop BB11_69 Depth 5
	v_ashrrev_i32_e32 v3, 31, v2
	s_mov_b32 s1, exec_lo
                                        ; implicit-def: $vgpr4_vgpr5
	s_delay_alu instid0(VALU_DEP_1) | instskip(NEXT) | instid1(VALU_DEP_1)
	v_or_b32_e32 v1, s17, v3
	v_cmpx_ne_u64_e32 0, v[0:1]
	s_xor_b32 s1, exec_lo, s1
	s_cbranch_execz .LBB11_14
; %bb.13:                               ;   in Loop: Header=BB11_12 Depth=1
	v_ashrrev_i32_e32 v1, 31, v2
	s_delay_alu instid0(VALU_DEP_1) | instskip(NEXT) | instid1(VALU_DEP_1)
	v_add_nc_u32_e32 v4, v2, v1
	v_xor_b32_e32 v4, v4, v1
	s_delay_alu instid0(VALU_DEP_1) | instskip(NEXT) | instid1(VALU_DEP_1)
	v_mul_hi_u32 v5, v4, v33
	v_mul_lo_u32 v6, v5, s52
	s_delay_alu instid0(VALU_DEP_1) | instskip(SKIP_1) | instid1(VALU_DEP_2)
	v_dual_sub_nc_u32 v4, v4, v6 :: v_dual_add_nc_u32 v6, 1, v5
	v_xor_b32_e32 v1, s51, v1
	v_cmp_le_u32_e32 vcc_lo, s52, v4
	s_delay_alu instid0(VALU_DEP_3) | instskip(NEXT) | instid1(VALU_DEP_1)
	v_cndmask_b32_e32 v5, v5, v6, vcc_lo
	v_add_nc_u32_e32 v6, 1, v5
	v_subrev_nc_u32_e32 v7, s52, v4
	s_delay_alu instid0(VALU_DEP_1) | instskip(NEXT) | instid1(VALU_DEP_1)
	v_cndmask_b32_e32 v4, v4, v7, vcc_lo
	v_cmp_le_u32_e32 vcc_lo, s52, v4
	s_delay_alu instid0(VALU_DEP_4) | instskip(NEXT) | instid1(VALU_DEP_1)
	v_cndmask_b32_e32 v4, v5, v6, vcc_lo
	v_xor_b32_e32 v4, v4, v1
	s_delay_alu instid0(VALU_DEP_1) | instskip(NEXT) | instid1(VALU_DEP_1)
	v_sub_nc_u32_e32 v4, v4, v1
	v_ashrrev_i32_e32 v5, 31, v4
.LBB11_14:                              ;   in Loop: Header=BB11_12 Depth=1
	s_and_not1_saveexec_b32 s1, s1
	s_cbranch_execz .LBB11_16
; %bb.15:                               ;   in Loop: Header=BB11_12 Depth=1
	v_mul_hi_u32 v1, v2, v34
	s_delay_alu instid0(VALU_DEP_1) | instskip(NEXT) | instid1(VALU_DEP_1)
	v_mul_lo_u32 v4, v1, s16
	v_dual_add_nc_u32 v5, 1, v1 :: v_dual_sub_nc_u32 v4, v2, v4
	s_delay_alu instid0(VALU_DEP_1) | instskip(SKIP_1) | instid1(VALU_DEP_2)
	v_subrev_nc_u32_e32 v6, s16, v4
	v_cmp_le_u32_e32 vcc_lo, s16, v4
	v_dual_cndmask_b32 v4, v4, v6 :: v_dual_cndmask_b32 v1, v1, v5
	s_delay_alu instid0(VALU_DEP_1) | instskip(NEXT) | instid1(VALU_DEP_2)
	v_cmp_le_u32_e32 vcc_lo, s16, v4
	v_add_nc_u32_e32 v5, 1, v1
	s_delay_alu instid0(VALU_DEP_1)
	v_dual_cndmask_b32 v4, v1, v5 :: v_dual_mov_b32 v5, v0
.LBB11_16:                              ;   in Loop: Header=BB11_12 Depth=1
	s_or_b32 exec_lo, exec_lo, s1
	s_delay_alu instid0(VALU_DEP_1) | instskip(SKIP_1) | instid1(VALU_DEP_1)
	v_mul_u64_e32 v[6:7], s[16:17], v[4:5]
	s_mov_b32 s1, exec_lo
	v_sub_nc_u64_e32 v[6:7], v[2:3], v[6:7]
	s_delay_alu instid0(VALU_DEP_1) | instskip(NEXT) | instid1(VALU_DEP_1)
	v_mul_u64_e32 v[8:9], s[20:21], v[6:7]
                                        ; implicit-def: $vgpr6_vgpr7
	v_or_b32_e32 v1, s17, v9
	s_delay_alu instid0(VALU_DEP_1)
	v_cmpx_ne_u64_e32 0, v[0:1]
	s_xor_b32 s36, exec_lo, s1
	s_cbranch_execz .LBB11_18
; %bb.17:                               ;   in Loop: Header=BB11_12 Depth=1
	s_mov_b32 s35, s34
	v_dual_mov_b32 v11, v0 :: v_dual_ashrrev_i32 v6, 31, v9
	s_add_nc_u64 s[2:3], s[16:17], s[34:35]
	s_delay_alu instid0(SALU_CYCLE_1) | instskip(NEXT) | instid1(VALU_DEP_1)
	s_xor_b64 s[2:3], s[2:3], s[34:35]
	v_mov_b32_e32 v7, v6
	s_cvt_f32_u32 s1, s2
	s_cvt_f32_u32 s14, s3
	s_sub_nc_u64 s[40:41], 0, s[2:3]
	s_delay_alu instid0(VALU_DEP_1) | instskip(NEXT) | instid1(SALU_CYCLE_1)
	v_add_nc_u64_e32 v[8:9], v[8:9], v[6:7]
	s_fmamk_f32 s1, s14, 0x4f800000, s1
	v_mov_b32_e32 v15, v0
	s_delay_alu instid0(SALU_CYCLE_2) | instskip(NEXT) | instid1(VALU_DEP_2)
	v_s_rcp_f32 s1, s1
	v_xor_b32_e32 v10, v8, v6
	s_delay_alu instid0(VALU_DEP_3) | instskip(NEXT) | instid1(TRANS32_DEP_1)
	v_dual_mov_b32 v19, v0 :: v_dual_bitop2_b32 v14, v9, v6 bitop3:0x14
	s_mul_f32 s1, s1, 0x5f7ffffc
	s_delay_alu instid0(SALU_CYCLE_3) | instskip(NEXT) | instid1(SALU_CYCLE_3)
	s_mul_f32 s14, s1, 0x2f800000
	s_trunc_f32 s14, s14
	s_delay_alu instid0(SALU_CYCLE_3) | instskip(SKIP_1) | instid1(SALU_CYCLE_2)
	s_fmamk_f32 s1, s14, 0xcf800000, s1
	s_cvt_u32_f32 s39, s14
	s_cvt_u32_f32 s38, s1
	s_delay_alu instid0(SALU_CYCLE_3) | instskip(NEXT) | instid1(SALU_CYCLE_1)
	s_mul_u64 s[42:43], s[40:41], s[38:39]
	s_mul_hi_u32 s45, s38, s43
	s_mul_i32 s44, s38, s43
	s_mul_hi_u32 s14, s38, s42
	s_mul_i32 s35, s39, s42
	s_add_nc_u64 s[44:45], s[14:15], s[44:45]
	s_mul_hi_u32 s1, s39, s42
	s_mul_hi_u32 s37, s39, s43
	s_add_co_u32 s14, s44, s35
	s_add_co_ci_u32 s14, s45, s1
	s_mul_i32 s42, s39, s43
	s_add_co_ci_u32 s43, s37, 0
	s_delay_alu instid0(SALU_CYCLE_1) | instskip(NEXT) | instid1(SALU_CYCLE_1)
	s_add_nc_u64 s[42:43], s[14:15], s[42:43]
	s_add_co_u32 s38, s38, s42
	s_cselect_b32 s1, -1, 0
	s_delay_alu instid0(SALU_CYCLE_1) | instskip(SKIP_1) | instid1(SALU_CYCLE_1)
	s_cmp_lg_u32 s1, 0
	s_add_co_ci_u32 s39, s39, s43
	s_mul_u64 s[40:41], s[40:41], s[38:39]
	s_delay_alu instid0(SALU_CYCLE_1)
	s_mul_hi_u32 s43, s38, s41
	s_mul_i32 s42, s38, s41
	s_mul_hi_u32 s14, s38, s40
	s_mul_i32 s35, s39, s40
	s_add_nc_u64 s[42:43], s[14:15], s[42:43]
	s_mul_hi_u32 s1, s39, s40
	s_mul_hi_u32 s37, s39, s41
	s_add_co_u32 s14, s42, s35
	s_add_co_ci_u32 s14, s43, s1
	s_mul_i32 s40, s39, s41
	s_add_co_ci_u32 s41, s37, 0
	s_delay_alu instid0(SALU_CYCLE_1) | instskip(NEXT) | instid1(SALU_CYCLE_1)
	s_add_nc_u64 s[40:41], s[14:15], s[40:41]
	s_add_co_u32 s38, s38, s40
	s_cselect_b32 s1, -1, 0
	v_mul_hi_u32 v18, v10, s38
	s_cmp_lg_u32 s1, 0
	s_add_co_ci_u32 s14, s39, s41
	s_and_b64 s[40:41], s[38:39], s[24:25]
	v_mul_u64_e32 v[12:13], s[14:15], v[10:11]
	v_mul_u64_e32 v[8:9], s[40:41], v[14:15]
	;; [unrolled: 1-line block ×3, first 2 shown]
	s_delay_alu instid0(VALU_DEP_3) | instskip(NEXT) | instid1(VALU_DEP_1)
	v_add_nc_u64_e32 v[12:13], v[18:19], v[12:13]
	v_add_co_u32 v1, vcc_lo, v12, v8
	s_delay_alu instid0(VALU_DEP_2) | instskip(NEXT) | instid1(VALU_DEP_4)
	v_add_co_ci_u32_e32 v18, vcc_lo, v13, v9, vcc_lo
	v_add_co_ci_u32_e32 v17, vcc_lo, 0, v17, vcc_lo
	s_delay_alu instid0(VALU_DEP_1) | instskip(NEXT) | instid1(VALU_DEP_1)
	v_add_nc_u64_e32 v[8:9], v[18:19], v[16:17]
	v_mul_u64_e32 v[12:13], s[2:3], v[8:9]
	s_delay_alu instid0(VALU_DEP_1) | instskip(NEXT) | instid1(VALU_DEP_2)
	v_sub_nc_u32_e32 v1, v14, v13
	v_sub_co_u32 v5, vcc_lo, v10, v12
	s_delay_alu instid0(VALU_DEP_1) | instskip(NEXT) | instid1(VALU_DEP_3)
	v_sub_co_ci_u32_e64 v14, null, v14, v13, vcc_lo
	v_subrev_co_ci_u32_e64 v1, null, s3, v1, vcc_lo
	s_delay_alu instid0(VALU_DEP_3) | instskip(SKIP_1) | instid1(VALU_DEP_3)
	v_sub_co_u32 v7, s1, v5, s2
	v_add_nc_u64_e32 v[12:13], 1, v[8:9]
	v_subrev_co_ci_u32_e64 v1, null, 0, v1, s1
	s_delay_alu instid0(VALU_DEP_3) | instskip(SKIP_1) | instid1(VALU_DEP_3)
	v_cmp_le_u32_e32 vcc_lo, s2, v7
	v_cndmask_b32_e64 v7, 0, -1, vcc_lo
	v_cmp_le_u32_e32 vcc_lo, s3, v1
	v_cndmask_b32_e64 v10, 0, -1, vcc_lo
	;; [unrolled: 2-line block ×4, first 2 shown]
	v_cmp_eq_u32_e32 vcc_lo, s3, v1
	v_cndmask_b32_e32 v1, v10, v7, vcc_lo
	v_cmp_eq_u32_e32 vcc_lo, s3, v14
	v_add_nc_u64_e32 v[10:11], 2, v[8:9]
	v_cndmask_b32_e32 v5, v15, v5, vcc_lo
	s_delay_alu instid0(VALU_DEP_4) | instskip(NEXT) | instid1(VALU_DEP_2)
	v_cmp_ne_u32_e32 vcc_lo, 0, v1
	v_cmp_ne_u32_e64 s1, 0, v5
	s_delay_alu instid0(VALU_DEP_4) | instskip(NEXT) | instid1(VALU_DEP_1)
	v_dual_cndmask_b32 v1, v13, v11, vcc_lo :: v_dual_cndmask_b32 v5, v12, v10, vcc_lo
	v_dual_cndmask_b32 v1, v9, v1, s1 :: v_dual_bitop2_b32 v6, s34, v6 bitop3:0x14
	s_delay_alu instid0(VALU_DEP_1) | instskip(NEXT) | instid1(VALU_DEP_2)
	v_dual_cndmask_b32 v5, v8, v5, s1 :: v_dual_mov_b32 v7, v6
	v_xor_b32_e32 v9, v1, v6
	s_delay_alu instid0(VALU_DEP_2) | instskip(NEXT) | instid1(VALU_DEP_1)
	v_xor_b32_e32 v8, v5, v6
	v_sub_nc_u64_e32 v[6:7], v[8:9], v[6:7]
                                        ; implicit-def: $vgpr8_vgpr9
.LBB11_18:                              ;   in Loop: Header=BB11_12 Depth=1
	s_and_not1_saveexec_b32 s1, s36
	s_cbranch_execz .LBB11_20
; %bb.19:                               ;   in Loop: Header=BB11_12 Depth=1
	s_delay_alu instid0(VALU_DEP_3) | instskip(NEXT) | instid1(VALU_DEP_1)
	v_mul_hi_u32 v1, v8, v34
	v_mul_lo_u32 v5, v1, s16
	v_add_nc_u32_e32 v6, 1, v1
	s_delay_alu instid0(VALU_DEP_2) | instskip(NEXT) | instid1(VALU_DEP_1)
	v_sub_nc_u32_e32 v5, v8, v5
	v_cmp_le_u32_e32 vcc_lo, s16, v5
	s_delay_alu instid0(VALU_DEP_3) | instskip(SKIP_1) | instid1(VALU_DEP_1)
	v_cndmask_b32_e32 v1, v1, v6, vcc_lo
	v_subrev_nc_u32_e32 v7, s16, v5
	v_dual_cndmask_b32 v5, v5, v7 :: v_dual_add_nc_u32 v6, 1, v1
	s_delay_alu instid0(VALU_DEP_1) | instskip(NEXT) | instid1(VALU_DEP_2)
	v_cmp_le_u32_e32 vcc_lo, s16, v5
	v_cndmask_b32_e32 v6, v1, v6, vcc_lo
.LBB11_20:                              ;   in Loop: Header=BB11_12 Depth=1
	s_or_b32 exec_lo, exec_lo, s1
	v_add_nc_u64_e32 v[10:11], 1, v[2:3]
	s_mov_b32 s1, exec_lo
	s_delay_alu instid0(VALU_DEP_1) | instskip(NEXT) | instid1(VALU_DEP_1)
	v_mad_nc_u64_u32 v[8:9], v10, s20, -1
	v_mad_u32 v1, v11, s20, v9
	s_delay_alu instid0(VALU_DEP_1) | instskip(NEXT) | instid1(VALU_DEP_1)
	v_mad_u32 v9, v10, s21, v1
                                        ; implicit-def: $vgpr10_vgpr11
	v_or_b32_e32 v1, s17, v9
	s_delay_alu instid0(VALU_DEP_1)
	v_cmpx_ne_u64_e32 0, v[0:1]
	s_xor_b32 s36, exec_lo, s1
	s_cbranch_execnz .LBB11_23
; %bb.21:                               ;   in Loop: Header=BB11_12 Depth=1
	s_and_not1_saveexec_b32 s1, s36
	s_cbranch_execnz .LBB11_24
.LBB11_22:                              ;   in Loop: Header=BB11_12 Depth=1
	s_or_b32 exec_lo, exec_lo, s1
	s_and_saveexec_b32 s35, s0
	s_cbranch_execz .LBB11_11
	s_branch .LBB11_25
.LBB11_23:                              ;   in Loop: Header=BB11_12 Depth=1
	s_mov_b32 s35, s34
	v_dual_mov_b32 v13, v0 :: v_dual_ashrrev_i32 v10, 31, v9
	s_add_nc_u64 s[2:3], s[16:17], s[34:35]
	v_mov_b32_e32 v21, v0
	s_xor_b64 s[2:3], s[2:3], s[34:35]
	s_delay_alu instid0(VALU_DEP_2) | instskip(SKIP_3) | instid1(VALU_DEP_1)
	v_mov_b32_e32 v11, v10
	s_cvt_f32_u32 s1, s2
	s_cvt_f32_u32 s14, s3
	s_sub_nc_u64 s[40:41], 0, s[2:3]
	v_add_nc_u64_e32 v[8:9], v[8:9], v[10:11]
	s_delay_alu instid0(SALU_CYCLE_1) | instskip(SKIP_1) | instid1(SALU_CYCLE_2)
	s_fmamk_f32 s1, s14, 0x4f800000, s1
	v_mov_b32_e32 v17, v0
	v_s_rcp_f32 s1, s1
	s_delay_alu instid0(VALU_DEP_2) | instskip(NEXT) | instid1(VALU_DEP_3)
	v_xor_b32_e32 v12, v8, v10
	v_xor_b32_e32 v16, v9, v10
	s_delay_alu instid0(TRANS32_DEP_1) | instskip(NEXT) | instid1(SALU_CYCLE_3)
	s_mul_f32 s1, s1, 0x5f7ffffc
	s_mul_f32 s14, s1, 0x2f800000
	s_delay_alu instid0(SALU_CYCLE_3) | instskip(NEXT) | instid1(SALU_CYCLE_3)
	s_trunc_f32 s14, s14
	s_fmamk_f32 s1, s14, 0xcf800000, s1
	s_cvt_u32_f32 s39, s14
	s_delay_alu instid0(SALU_CYCLE_2) | instskip(NEXT) | instid1(SALU_CYCLE_3)
	s_cvt_u32_f32 s38, s1
	s_mul_u64 s[42:43], s[40:41], s[38:39]
	s_delay_alu instid0(SALU_CYCLE_1)
	s_mul_hi_u32 s45, s38, s43
	s_mul_i32 s44, s38, s43
	s_mul_hi_u32 s14, s38, s42
	s_mul_i32 s35, s39, s42
	s_add_nc_u64 s[44:45], s[14:15], s[44:45]
	s_mul_hi_u32 s1, s39, s42
	s_mul_hi_u32 s37, s39, s43
	s_add_co_u32 s14, s44, s35
	s_add_co_ci_u32 s14, s45, s1
	s_mul_i32 s42, s39, s43
	s_add_co_ci_u32 s43, s37, 0
	s_delay_alu instid0(SALU_CYCLE_1) | instskip(NEXT) | instid1(SALU_CYCLE_1)
	s_add_nc_u64 s[42:43], s[14:15], s[42:43]
	s_add_co_u32 s38, s38, s42
	s_cselect_b32 s1, -1, 0
	s_delay_alu instid0(SALU_CYCLE_1) | instskip(SKIP_1) | instid1(SALU_CYCLE_1)
	s_cmp_lg_u32 s1, 0
	s_add_co_ci_u32 s39, s39, s43
	s_mul_u64 s[40:41], s[40:41], s[38:39]
	s_delay_alu instid0(SALU_CYCLE_1)
	s_mul_hi_u32 s43, s38, s41
	s_mul_i32 s42, s38, s41
	s_mul_hi_u32 s14, s38, s40
	s_mul_i32 s35, s39, s40
	s_add_nc_u64 s[42:43], s[14:15], s[42:43]
	s_mul_hi_u32 s1, s39, s40
	s_mul_hi_u32 s37, s39, s41
	s_add_co_u32 s14, s42, s35
	s_add_co_ci_u32 s14, s43, s1
	s_mul_i32 s40, s39, s41
	s_add_co_ci_u32 s41, s37, 0
	s_delay_alu instid0(SALU_CYCLE_1) | instskip(NEXT) | instid1(SALU_CYCLE_1)
	s_add_nc_u64 s[40:41], s[14:15], s[40:41]
	s_add_co_u32 s38, s38, s40
	s_cselect_b32 s1, -1, 0
	v_mul_hi_u32 v20, v12, s38
	s_cmp_lg_u32 s1, 0
	s_add_co_ci_u32 s14, s39, s41
	s_and_b64 s[40:41], s[38:39], s[24:25]
	v_mul_u64_e32 v[14:15], s[14:15], v[12:13]
	v_mul_u64_e32 v[8:9], s[40:41], v[16:17]
	;; [unrolled: 1-line block ×3, first 2 shown]
	s_delay_alu instid0(VALU_DEP_3) | instskip(NEXT) | instid1(VALU_DEP_1)
	v_add_nc_u64_e32 v[14:15], v[20:21], v[14:15]
	v_add_co_u32 v1, vcc_lo, v14, v8
	s_delay_alu instid0(VALU_DEP_2) | instskip(NEXT) | instid1(VALU_DEP_4)
	v_add_co_ci_u32_e32 v20, vcc_lo, v15, v9, vcc_lo
	v_add_co_ci_u32_e32 v19, vcc_lo, 0, v19, vcc_lo
	s_delay_alu instid0(VALU_DEP_1) | instskip(NEXT) | instid1(VALU_DEP_1)
	v_add_nc_u64_e32 v[8:9], v[20:21], v[18:19]
	v_mul_u64_e32 v[14:15], s[2:3], v[8:9]
	s_delay_alu instid0(VALU_DEP_1) | instskip(SKIP_1) | instid1(VALU_DEP_3)
	v_sub_co_u32 v3, vcc_lo, v12, v14
	v_add_nc_u64_e32 v[12:13], 2, v[8:9]
	v_sub_nc_u32_e32 v1, v16, v15
	v_sub_co_ci_u32_e64 v7, null, v16, v15, vcc_lo
	s_delay_alu instid0(VALU_DEP_4) | instskip(NEXT) | instid1(VALU_DEP_3)
	v_sub_co_u32 v5, s1, v3, s2
	v_subrev_co_ci_u32_e64 v1, null, s3, v1, vcc_lo
	v_add_nc_u64_e32 v[14:15], 1, v[8:9]
	s_delay_alu instid0(VALU_DEP_3) | instskip(NEXT) | instid1(VALU_DEP_3)
	v_cmp_le_u32_e32 vcc_lo, s2, v5
	v_subrev_co_ci_u32_e64 v1, null, 0, v1, s1
	v_cndmask_b32_e64 v5, 0, -1, vcc_lo
	s_delay_alu instid0(VALU_DEP_2)
	v_cmp_le_u32_e32 vcc_lo, s3, v1
	v_cndmask_b32_e64 v11, 0, -1, vcc_lo
	v_cmp_le_u32_e32 vcc_lo, s2, v3
	v_cndmask_b32_e64 v3, 0, -1, vcc_lo
	;; [unrolled: 2-line block ×3, first 2 shown]
	v_cmp_eq_u32_e32 vcc_lo, s3, v1
	v_cndmask_b32_e32 v1, v11, v5, vcc_lo
	v_cmp_eq_u32_e32 vcc_lo, s3, v7
	s_delay_alu instid0(VALU_DEP_4) | instskip(NEXT) | instid1(VALU_DEP_3)
	v_cndmask_b32_e32 v3, v16, v3, vcc_lo
	v_cmp_ne_u32_e32 vcc_lo, 0, v1
	v_cndmask_b32_e32 v1, v15, v13, vcc_lo
	s_delay_alu instid0(VALU_DEP_3) | instskip(SKIP_1) | instid1(VALU_DEP_1)
	v_cmp_ne_u32_e64 s1, 0, v3
	v_dual_cndmask_b32 v3, v14, v12, vcc_lo :: v_dual_bitop2_b32 v10, s34, v10 bitop3:0x14
	v_dual_cndmask_b32 v1, v9, v1, s1 :: v_dual_cndmask_b32 v3, v8, v3, s1
	s_delay_alu instid0(VALU_DEP_1) | instskip(NEXT) | instid1(VALU_DEP_2)
	v_dual_mov_b32 v11, v10 :: v_dual_bitop2_b32 v9, v1, v10 bitop3:0x14
	v_xor_b32_e32 v8, v3, v10
	s_delay_alu instid0(VALU_DEP_1)
	v_sub_nc_u64_e32 v[10:11], v[8:9], v[10:11]
                                        ; implicit-def: $vgpr8_vgpr9
	s_and_not1_saveexec_b32 s1, s36
	s_cbranch_execz .LBB11_22
.LBB11_24:                              ;   in Loop: Header=BB11_12 Depth=1
	v_mul_hi_u32 v1, v8, v34
	s_delay_alu instid0(VALU_DEP_1) | instskip(NEXT) | instid1(VALU_DEP_1)
	v_mul_lo_u32 v3, v1, s16
	v_dual_add_nc_u32 v5, 1, v1 :: v_dual_sub_nc_u32 v3, v8, v3
	s_delay_alu instid0(VALU_DEP_1) | instskip(SKIP_1) | instid1(VALU_DEP_2)
	v_subrev_nc_u32_e32 v7, s16, v3
	v_cmp_le_u32_e32 vcc_lo, s16, v3
	v_dual_cndmask_b32 v3, v3, v7, vcc_lo :: v_dual_cndmask_b32 v1, v1, v5, vcc_lo
	s_delay_alu instid0(VALU_DEP_1) | instskip(NEXT) | instid1(VALU_DEP_2)
	v_cmp_le_u32_e32 vcc_lo, s16, v3
	v_add_nc_u32_e32 v5, 1, v1
	s_delay_alu instid0(VALU_DEP_1)
	v_cndmask_b32_e32 v10, v1, v5, vcc_lo
	s_or_b32 exec_lo, exec_lo, s1
	s_and_saveexec_b32 s35, s0
	s_cbranch_execz .LBB11_11
.LBB11_25:                              ;   in Loop: Header=BB11_12 Depth=1
	v_mul_lo_u32 v8, v2, s6
	v_mad_u32 v3, v4, s20, v6
	v_mad_u32 v36, s8, v4, v6
	v_dual_mov_b32 v6, v32 :: v_dual_add_nc_u32 v35, 1, v10
	s_mov_b32 s55, 0
	s_delay_alu instid0(VALU_DEP_4) | instskip(NEXT) | instid1(VALU_DEP_2)
	v_ashrrev_i32_e32 v9, 31, v8
	v_cmp_gt_i32_e64 s1, v35, v3
	s_delay_alu instid0(VALU_DEP_2)
	v_lshl_add_u64 v[4:5], v[8:9], 1, s[26:27]
	s_branch .LBB11_27
.LBB11_26:                              ;   in Loop: Header=BB11_27 Depth=2
	v_add_nc_u32_e32 v6, s7, v6
	s_delay_alu instid0(VALU_DEP_1) | instskip(SKIP_1) | instid1(SALU_CYCLE_1)
	v_cmp_le_i32_e32 vcc_lo, s6, v6
	s_or_b32 s55, vcc_lo, s55
	s_and_not1_b32 exec_lo, exec_lo, s55
	s_cbranch_execz .LBB11_11
.LBB11_27:                              ;   Parent Loop BB11_12 Depth=1
                                        ; =>  This Loop Header: Depth=2
                                        ;       Child Loop BB11_42 Depth 3
                                        ;         Child Loop BB11_54 Depth 4
                                        ;           Child Loop BB11_69 Depth 5
	s_mov_b32 s2, s15
	s_mov_b32 s3, s19
	v_mov_b32_e32 v7, v0
	s_cmp_lg_u64 s[2:3], 0
                                        ; implicit-def: $vgpr12_vgpr13
	s_cselect_b32 s2, -1, 0
	s_delay_alu instid0(SALU_CYCLE_1) | instskip(NEXT) | instid1(SALU_CYCLE_1)
	s_and_saveexec_b32 s3, s2
	s_xor_b32 s3, exec_lo, s3
	s_cbranch_execz .LBB11_29
; %bb.28:                               ;   in Loop: Header=BB11_27 Depth=2
	s_ashr_i32 s36, s19, 31
	v_add_nc_u64_e32 v[8:9], 0, v[6:7]
	s_mov_b32 s37, s36
	v_mov_b32_e32 v11, v0
	s_add_nc_u64 s[38:39], s[18:19], s[36:37]
	v_mov_b32_e32 v13, v0
	s_xor_b64 s[38:39], s[38:39], s[36:37]
	v_mov_b32_e32 v17, v0
	s_cvt_f32_u32 s2, s38
	s_cvt_f32_u32 s14, s39
	s_sub_nc_u64 s[42:43], 0, s[38:39]
	v_dual_mov_b32 v10, v8 :: v_dual_mov_b32 v12, v9
	s_delay_alu instid0(SALU_CYCLE_1) | instskip(NEXT) | instid1(SALU_CYCLE_3)
	s_fmamk_f32 s2, s14, 0x4f800000, s2
	v_s_rcp_f32 s2, s2
	s_delay_alu instid0(TRANS32_DEP_1) | instskip(NEXT) | instid1(SALU_CYCLE_3)
	s_mul_f32 s2, s2, 0x5f7ffffc
	s_mul_f32 s14, s2, 0x2f800000
	s_delay_alu instid0(SALU_CYCLE_3) | instskip(NEXT) | instid1(SALU_CYCLE_3)
	s_trunc_f32 s14, s14
	s_fmamk_f32 s2, s14, 0xcf800000, s2
	s_cvt_u32_f32 s41, s14
	s_delay_alu instid0(SALU_CYCLE_2) | instskip(NEXT) | instid1(SALU_CYCLE_3)
	s_cvt_u32_f32 s40, s2
	s_mul_u64 s[44:45], s[42:43], s[40:41]
	s_delay_alu instid0(SALU_CYCLE_1)
	s_mul_hi_u32 s47, s40, s45
	s_mul_i32 s46, s40, s45
	s_mul_hi_u32 s14, s40, s44
	s_mul_i32 s37, s41, s44
	s_add_nc_u64 s[46:47], s[14:15], s[46:47]
	s_mul_hi_u32 s2, s41, s44
	s_mul_hi_u32 s48, s41, s45
	s_add_co_u32 s14, s46, s37
	s_add_co_ci_u32 s14, s47, s2
	s_mul_i32 s44, s41, s45
	s_add_co_ci_u32 s45, s48, 0
	s_delay_alu instid0(SALU_CYCLE_1) | instskip(NEXT) | instid1(SALU_CYCLE_1)
	s_add_nc_u64 s[44:45], s[14:15], s[44:45]
	s_add_co_u32 s40, s40, s44
	s_cselect_b32 s2, -1, 0
	s_delay_alu instid0(SALU_CYCLE_1) | instskip(SKIP_1) | instid1(SALU_CYCLE_1)
	s_cmp_lg_u32 s2, 0
	s_add_co_ci_u32 s41, s41, s45
	s_mul_u64 s[42:43], s[42:43], s[40:41]
	s_delay_alu instid0(SALU_CYCLE_1)
	s_mul_hi_u32 s45, s40, s43
	s_mul_i32 s44, s40, s43
	s_mul_hi_u32 s14, s40, s42
	s_mul_i32 s37, s41, s42
	s_add_nc_u64 s[44:45], s[14:15], s[44:45]
	s_mul_hi_u32 s2, s41, s42
	s_mul_hi_u32 s46, s41, s43
	s_add_co_u32 s14, s44, s37
	s_add_co_ci_u32 s14, s45, s2
	s_mul_i32 s42, s41, s43
	s_add_co_ci_u32 s43, s46, 0
	s_delay_alu instid0(SALU_CYCLE_1) | instskip(NEXT) | instid1(SALU_CYCLE_1)
	s_add_nc_u64 s[42:43], s[14:15], s[42:43]
	s_add_co_u32 s2, s40, s42
	s_cselect_b32 s14, -1, 0
	v_nop
	v_mul_hi_u32 v16, v8, s2
	s_cmp_lg_u32 s14, 0
	s_add_co_ci_u32 s14, s41, s43
	s_and_b64 s[40:41], s[2:3], s[24:25]
	v_mul_u64_e32 v[10:11], s[14:15], v[10:11]
	v_mul_u64_e32 v[14:15], s[40:41], v[12:13]
	;; [unrolled: 1-line block ×3, first 2 shown]
	s_delay_alu instid0(VALU_DEP_3) | instskip(NEXT) | instid1(VALU_DEP_1)
	v_add_nc_u64_e32 v[10:11], v[16:17], v[10:11]
	v_add_co_u32 v1, vcc_lo, v10, v14
	s_delay_alu instid0(VALU_DEP_2) | instskip(NEXT) | instid1(VALU_DEP_4)
	v_add_co_ci_u32_e32 v16, vcc_lo, v11, v15, vcc_lo
	v_add_co_ci_u32_e32 v13, vcc_lo, 0, v13, vcc_lo
	s_delay_alu instid0(VALU_DEP_1) | instskip(NEXT) | instid1(VALU_DEP_1)
	v_add_nc_u64_e32 v[10:11], v[16:17], v[12:13]
	v_mul_u64_e32 v[12:13], s[38:39], v[10:11]
	v_add_nc_u64_e32 v[14:15], 2, v[10:11]
	s_delay_alu instid0(VALU_DEP_2) | instskip(NEXT) | instid1(VALU_DEP_3)
	v_sub_nc_u32_e32 v1, v9, v13
	v_sub_co_u32 v8, vcc_lo, v8, v12
	s_delay_alu instid0(VALU_DEP_1) | instskip(NEXT) | instid1(VALU_DEP_3)
	v_sub_co_ci_u32_e64 v13, null, v9, v13, vcc_lo
	v_subrev_co_ci_u32_e64 v1, null, s39, v1, vcc_lo
	s_delay_alu instid0(VALU_DEP_3) | instskip(SKIP_1) | instid1(VALU_DEP_3)
	v_sub_co_u32 v12, s2, v8, s38
	v_cmp_le_u32_e32 vcc_lo, s38, v8
	v_subrev_co_ci_u32_e64 v1, null, 0, v1, s2
	s_delay_alu instid0(VALU_DEP_3) | instskip(SKIP_2) | instid1(VALU_DEP_4)
	v_cmp_le_u32_e64 s2, s38, v12
	v_add_nc_u64_e32 v[8:9], 1, v[10:11]
	v_cndmask_b32_e64 v17, 0, -1, vcc_lo
	v_cmp_eq_u32_e32 vcc_lo, s39, v1
	s_delay_alu instid0(VALU_DEP_4) | instskip(SKIP_1) | instid1(VALU_DEP_1)
	v_cndmask_b32_e64 v12, 0, -1, s2
	v_cmp_le_u32_e64 s2, s39, v1
	v_cndmask_b32_e64 v16, 0, -1, s2
	v_cmp_eq_u32_e64 s2, s39, v13
	s_delay_alu instid0(VALU_DEP_2) | instskip(SKIP_2) | instid1(VALU_DEP_3)
	v_cndmask_b32_e32 v1, v16, v12, vcc_lo
	v_cmp_le_u32_e32 vcc_lo, s39, v13
	v_cndmask_b32_e64 v12, 0, -1, vcc_lo
	v_cmp_ne_u32_e32 vcc_lo, 0, v1
	v_dual_cndmask_b32 v9, v9, v15 :: v_dual_cndmask_b32 v8, v8, v14
	s_delay_alu instid0(VALU_DEP_3) | instskip(NEXT) | instid1(VALU_DEP_1)
	v_cndmask_b32_e64 v1, v12, v17, s2
	v_cmp_ne_u32_e32 vcc_lo, 0, v1
	s_delay_alu instid0(VALU_DEP_3) | instskip(SKIP_1) | instid1(VALU_DEP_2)
	v_dual_cndmask_b32 v1, v11, v9 :: v_dual_cndmask_b32 v10, v10, v8
	v_dual_mov_b32 v9, s36 :: v_dual_mov_b32 v8, s36
	v_xor_b32_e32 v11, s36, v1
	s_delay_alu instid0(VALU_DEP_3) | instskip(NEXT) | instid1(VALU_DEP_1)
	v_xor_b32_e32 v10, s36, v10
	v_sub_nc_u64_e32 v[12:13], v[10:11], v[8:9]
.LBB11_29:                              ;   in Loop: Header=BB11_27 Depth=2
	s_or_saveexec_b32 s2, s3
	v_cvt_f32_u32_e32 v10, s18
	s_xor_b32 exec_lo, exec_lo, s2
	s_cbranch_execz .LBB11_31
; %bb.30:                               ;   in Loop: Header=BB11_27 Depth=2
	s_delay_alu instid0(VALU_DEP_1) | instskip(SKIP_2) | instid1(TRANS32_DEP_1)
	v_rcp_iflag_f32_e32 v1, v10
	s_sub_co_i32 s3, 0, s18
	v_mov_b32_e32 v13, v0
	v_mul_f32_e32 v1, 0x4f7ffffe, v1
	s_delay_alu instid0(VALU_DEP_1) | instskip(NEXT) | instid1(VALU_DEP_1)
	v_cvt_u32_f32_e32 v1, v1
	v_mul_lo_u32 v8, s3, v1
	s_delay_alu instid0(VALU_DEP_1) | instskip(NEXT) | instid1(VALU_DEP_1)
	v_mul_hi_u32 v8, v1, v8
	v_add_nc_u32_e32 v1, v1, v8
	s_delay_alu instid0(VALU_DEP_1) | instskip(NEXT) | instid1(VALU_DEP_1)
	v_mul_hi_u32 v1, v6, v1
	v_mul_lo_u32 v8, v1, s18
	s_delay_alu instid0(VALU_DEP_1) | instskip(NEXT) | instid1(VALU_DEP_1)
	v_dual_add_nc_u32 v9, 1, v1 :: v_dual_sub_nc_u32 v8, v6, v8
	v_subrev_nc_u32_e32 v11, s18, v8
	v_cmp_le_u32_e32 vcc_lo, s18, v8
	s_delay_alu instid0(VALU_DEP_2) | instskip(NEXT) | instid1(VALU_DEP_1)
	v_dual_cndmask_b32 v8, v8, v11 :: v_dual_cndmask_b32 v1, v1, v9
	v_cmp_le_u32_e32 vcc_lo, s18, v8
	s_delay_alu instid0(VALU_DEP_2) | instskip(NEXT) | instid1(VALU_DEP_1)
	v_add_nc_u32_e32 v9, 1, v1
	v_cndmask_b32_e32 v12, v1, v9, vcc_lo
.LBB11_31:                              ;   in Loop: Header=BB11_27 Depth=2
	s_or_b32 exec_lo, exec_lo, s2
	s_delay_alu instid0(VALU_DEP_1) | instskip(SKIP_1) | instid1(VALU_DEP_1)
	v_mul_u64_e32 v[8:9], s[18:19], v[12:13]
                                        ; implicit-def: $vgpr14_vgpr15
	s_mov_b32 s2, exec_lo
	v_sub_nc_u64_e32 v[8:9], v[6:7], v[8:9]
	s_delay_alu instid0(VALU_DEP_1) | instskip(NEXT) | instid1(VALU_DEP_1)
	v_mul_u64_e32 v[8:9], s[22:23], v[8:9]
	v_or_b32_e32 v1, s19, v9
	s_delay_alu instid0(VALU_DEP_1)
	v_cmpx_ne_u64_e32 0, v[0:1]
	s_xor_b32 s3, exec_lo, s2
	s_cbranch_execz .LBB11_33
; %bb.32:                               ;   in Loop: Header=BB11_27 Depth=2
	s_ashr_i32 s36, s19, 31
	v_dual_mov_b32 v17, v0 :: v_dual_ashrrev_i32 v14, 31, v9
	s_mov_b32 s37, s36
	v_mov_b32_e32 v25, v0
	s_add_nc_u64 s[38:39], s[18:19], s[36:37]
	s_delay_alu instid0(VALU_DEP_2) | instskip(SKIP_1) | instid1(SALU_CYCLE_1)
	v_mov_b32_e32 v15, v14
	s_xor_b64 s[38:39], s[38:39], s[36:37]
	s_cvt_f32_u32 s2, s38
	s_cvt_f32_u32 s14, s39
	s_sub_nc_u64 s[42:43], 0, s[38:39]
	v_add_nc_u64_e32 v[8:9], v[8:9], v[14:15]
	v_mov_b32_e32 v21, v0
	s_fmamk_f32 s2, s14, 0x4f800000, s2
	s_delay_alu instid0(SALU_CYCLE_3) | instskip(NEXT) | instid1(VALU_DEP_2)
	v_s_rcp_f32 s2, s2
	v_xor_b32_e32 v16, v8, v14
	s_delay_alu instid0(VALU_DEP_3) | instskip(SKIP_1) | instid1(TRANS32_DEP_1)
	v_xor_b32_e32 v20, v9, v14
	v_xor_b32_e32 v14, s36, v14
	s_mul_f32 s2, s2, 0x5f7ffffc
	s_delay_alu instid0(SALU_CYCLE_3) | instskip(NEXT) | instid1(SALU_CYCLE_3)
	s_mul_f32 s14, s2, 0x2f800000
	s_trunc_f32 s14, s14
	s_delay_alu instid0(SALU_CYCLE_3) | instskip(SKIP_1) | instid1(SALU_CYCLE_2)
	s_fmamk_f32 s2, s14, 0xcf800000, s2
	s_cvt_u32_f32 s41, s14
	s_cvt_u32_f32 s40, s2
	s_delay_alu instid0(SALU_CYCLE_3) | instskip(NEXT) | instid1(SALU_CYCLE_1)
	s_mul_u64 s[44:45], s[42:43], s[40:41]
	s_mul_hi_u32 s47, s40, s45
	s_mul_i32 s46, s40, s45
	s_mul_hi_u32 s14, s40, s44
	s_mul_i32 s37, s41, s44
	s_add_nc_u64 s[46:47], s[14:15], s[46:47]
	s_mul_hi_u32 s2, s41, s44
	s_mul_hi_u32 s48, s41, s45
	s_add_co_u32 s14, s46, s37
	s_add_co_ci_u32 s14, s47, s2
	s_mul_i32 s44, s41, s45
	s_add_co_ci_u32 s45, s48, 0
	s_delay_alu instid0(SALU_CYCLE_1) | instskip(NEXT) | instid1(SALU_CYCLE_1)
	s_add_nc_u64 s[44:45], s[14:15], s[44:45]
	s_add_co_u32 s40, s40, s44
	s_cselect_b32 s2, -1, 0
	s_delay_alu instid0(SALU_CYCLE_1) | instskip(SKIP_1) | instid1(SALU_CYCLE_1)
	s_cmp_lg_u32 s2, 0
	s_add_co_ci_u32 s41, s41, s45
	s_mul_u64 s[42:43], s[42:43], s[40:41]
	s_delay_alu instid0(SALU_CYCLE_1)
	s_mul_hi_u32 s45, s40, s43
	s_mul_i32 s44, s40, s43
	s_mul_hi_u32 s14, s40, s42
	s_mul_i32 s37, s41, s42
	s_add_nc_u64 s[44:45], s[14:15], s[44:45]
	s_mul_hi_u32 s2, s41, s42
	s_mul_hi_u32 s46, s41, s43
	s_add_co_u32 s14, s44, s37
	s_add_co_ci_u32 s14, s45, s2
	s_mul_i32 s42, s41, s43
	s_add_co_ci_u32 s43, s46, 0
	s_delay_alu instid0(SALU_CYCLE_1) | instskip(NEXT) | instid1(SALU_CYCLE_1)
	s_add_nc_u64 s[42:43], s[14:15], s[42:43]
	s_add_co_u32 s2, s40, s42
	s_cselect_b32 s14, -1, 0
	v_mul_hi_u32 v24, v16, s2
	s_cmp_lg_u32 s14, 0
	s_add_co_ci_u32 s14, s41, s43
	s_and_b64 s[40:41], s[2:3], s[24:25]
	v_mul_u64_e32 v[18:19], s[14:15], v[16:17]
	v_mul_u64_e32 v[8:9], s[40:41], v[20:21]
	;; [unrolled: 1-line block ×3, first 2 shown]
	s_delay_alu instid0(VALU_DEP_3) | instskip(NEXT) | instid1(VALU_DEP_1)
	v_add_nc_u64_e32 v[18:19], v[24:25], v[18:19]
	v_add_co_u32 v1, vcc_lo, v18, v8
	s_delay_alu instid0(VALU_DEP_2) | instskip(NEXT) | instid1(VALU_DEP_4)
	v_add_co_ci_u32_e32 v24, vcc_lo, v19, v9, vcc_lo
	v_add_co_ci_u32_e32 v23, vcc_lo, 0, v23, vcc_lo
	s_delay_alu instid0(VALU_DEP_1) | instskip(NEXT) | instid1(VALU_DEP_1)
	v_add_nc_u64_e32 v[8:9], v[24:25], v[22:23]
	v_mul_u64_e32 v[18:19], s[38:39], v[8:9]
	s_delay_alu instid0(VALU_DEP_1) | instskip(NEXT) | instid1(VALU_DEP_2)
	v_sub_nc_u32_e32 v1, v20, v19
	v_sub_co_u32 v11, vcc_lo, v16, v18
	s_delay_alu instid0(VALU_DEP_1) | instskip(NEXT) | instid1(VALU_DEP_3)
	v_sub_co_ci_u32_e64 v15, null, v20, v19, vcc_lo
	v_subrev_co_ci_u32_e64 v1, null, s39, v1, vcc_lo
	s_delay_alu instid0(VALU_DEP_3) | instskip(SKIP_1) | instid1(VALU_DEP_3)
	v_sub_co_u32 v13, s2, v11, s38
	v_add_nc_u64_e32 v[18:19], 1, v[8:9]
	v_subrev_co_ci_u32_e64 v1, null, 0, v1, s2
	s_delay_alu instid0(VALU_DEP_3) | instskip(SKIP_1) | instid1(VALU_DEP_3)
	v_cmp_le_u32_e32 vcc_lo, s38, v13
	v_cndmask_b32_e64 v13, 0, -1, vcc_lo
	v_cmp_le_u32_e32 vcc_lo, s39, v1
	v_cndmask_b32_e64 v16, 0, -1, vcc_lo
	;; [unrolled: 2-line block ×4, first 2 shown]
	v_cmp_eq_u32_e32 vcc_lo, s39, v1
	v_cndmask_b32_e32 v1, v16, v13, vcc_lo
	v_cmp_eq_u32_e32 vcc_lo, s39, v15
	v_add_nc_u64_e32 v[16:17], 2, v[8:9]
	v_dual_mov_b32 v15, v14 :: v_dual_cndmask_b32 v11, v20, v11, vcc_lo
	s_delay_alu instid0(VALU_DEP_4) | instskip(NEXT) | instid1(VALU_DEP_2)
	v_cmp_ne_u32_e32 vcc_lo, 0, v1
	v_cmp_ne_u32_e64 s2, 0, v11
	s_delay_alu instid0(VALU_DEP_4) | instskip(NEXT) | instid1(VALU_DEP_1)
	v_dual_cndmask_b32 v1, v19, v17, vcc_lo :: v_dual_cndmask_b32 v11, v18, v16, vcc_lo
	v_dual_cndmask_b32 v1, v9, v1, s2 :: v_dual_cndmask_b32 v8, v8, v11, s2
	s_delay_alu instid0(VALU_DEP_1) | instskip(NEXT) | instid1(VALU_DEP_2)
	v_xor_b32_e32 v9, v1, v14
	v_xor_b32_e32 v8, v8, v14
	s_delay_alu instid0(VALU_DEP_1)
	v_sub_nc_u64_e32 v[14:15], v[8:9], v[14:15]
                                        ; implicit-def: $vgpr8_vgpr9
.LBB11_33:                              ;   in Loop: Header=BB11_27 Depth=2
	s_and_not1_saveexec_b32 s2, s3
	s_cbranch_execz .LBB11_35
; %bb.34:                               ;   in Loop: Header=BB11_27 Depth=2
	v_rcp_iflag_f32_e32 v1, v10
	s_sub_co_i32 s3, 0, s18
	v_nop
	s_delay_alu instid0(TRANS32_DEP_1) | instskip(NEXT) | instid1(VALU_DEP_1)
	v_mul_f32_e32 v1, 0x4f7ffffe, v1
	v_cvt_u32_f32_e32 v1, v1
	s_delay_alu instid0(VALU_DEP_1) | instskip(NEXT) | instid1(VALU_DEP_1)
	v_mul_lo_u32 v9, s3, v1
	v_mul_hi_u32 v9, v1, v9
	s_delay_alu instid0(VALU_DEP_1) | instskip(NEXT) | instid1(VALU_DEP_1)
	v_add_nc_u32_e32 v1, v1, v9
	v_mul_hi_u32 v1, v8, v1
	s_delay_alu instid0(VALU_DEP_1) | instskip(NEXT) | instid1(VALU_DEP_1)
	v_mul_lo_u32 v9, v1, s18
	v_sub_nc_u32_e32 v8, v8, v9
	v_add_nc_u32_e32 v9, 1, v1
	s_delay_alu instid0(VALU_DEP_2) | instskip(SKIP_1) | instid1(VALU_DEP_2)
	v_subrev_nc_u32_e32 v11, s18, v8
	v_cmp_le_u32_e32 vcc_lo, s18, v8
	v_dual_cndmask_b32 v8, v8, v11 :: v_dual_cndmask_b32 v1, v1, v9
	s_delay_alu instid0(VALU_DEP_1) | instskip(NEXT) | instid1(VALU_DEP_2)
	v_cmp_le_u32_e32 vcc_lo, s18, v8
	v_add_nc_u32_e32 v9, 1, v1
	s_delay_alu instid0(VALU_DEP_1)
	v_cndmask_b32_e32 v14, v1, v9, vcc_lo
.LBB11_35:                              ;   in Loop: Header=BB11_27 Depth=2
	s_or_b32 exec_lo, exec_lo, s2
	v_add_nc_u32_e32 v1, 1, v6
                                        ; implicit-def: $vgpr16_vgpr17
	s_mov_b32 s2, exec_lo
	s_delay_alu instid0(VALU_DEP_1) | instskip(NEXT) | instid1(VALU_DEP_1)
	v_mad_nc_u64_u32 v[8:9], v1, s22, -1
	v_mad_u32 v9, v1, s23, v9
	s_delay_alu instid0(VALU_DEP_1) | instskip(NEXT) | instid1(VALU_DEP_1)
	v_or_b32_e32 v1, s19, v9
	v_cmpx_ne_u64_e32 0, v[0:1]
	s_xor_b32 s3, exec_lo, s2
	s_cbranch_execnz .LBB11_38
; %bb.36:                               ;   in Loop: Header=BB11_27 Depth=2
	s_and_not1_saveexec_b32 s2, s3
	s_cbranch_execnz .LBB11_39
.LBB11_37:                              ;   in Loop: Header=BB11_27 Depth=2
	s_or_b32 exec_lo, exec_lo, s2
	s_delay_alu instid0(SALU_CYCLE_1)
	s_and_not1_b32 vcc_lo, exec_lo, s50
	s_cbranch_vccnz .LBB11_26
	s_branch .LBB11_40
.LBB11_38:                              ;   in Loop: Header=BB11_27 Depth=2
	s_ashr_i32 s36, s19, 31
	v_dual_mov_b32 v17, v0 :: v_dual_ashrrev_i32 v10, 31, v9
	s_mov_b32 s37, s36
	v_mov_b32_e32 v25, v0
	s_add_nc_u64 s[38:39], s[18:19], s[36:37]
	s_delay_alu instid0(VALU_DEP_2) | instskip(SKIP_1) | instid1(SALU_CYCLE_1)
	v_mov_b32_e32 v11, v10
	s_xor_b64 s[38:39], s[38:39], s[36:37]
	s_cvt_f32_u32 s2, s38
	s_cvt_f32_u32 s14, s39
	s_sub_nc_u64 s[42:43], 0, s[38:39]
	v_add_nc_u64_e32 v[8:9], v[8:9], v[10:11]
	v_mov_b32_e32 v21, v0
	s_fmamk_f32 s2, s14, 0x4f800000, s2
	s_delay_alu instid0(SALU_CYCLE_3) | instskip(NEXT) | instid1(VALU_DEP_2)
	v_s_rcp_f32 s2, s2
	v_xor_b32_e32 v16, v8, v10
	s_delay_alu instid0(VALU_DEP_3) | instskip(SKIP_1) | instid1(TRANS32_DEP_1)
	v_xor_b32_e32 v20, v9, v10
	v_xor_b32_e32 v10, s36, v10
	s_mul_f32 s2, s2, 0x5f7ffffc
	s_delay_alu instid0(SALU_CYCLE_3) | instskip(NEXT) | instid1(SALU_CYCLE_3)
	s_mul_f32 s14, s2, 0x2f800000
	s_trunc_f32 s14, s14
	s_delay_alu instid0(SALU_CYCLE_3) | instskip(SKIP_1) | instid1(SALU_CYCLE_2)
	s_fmamk_f32 s2, s14, 0xcf800000, s2
	s_cvt_u32_f32 s41, s14
	s_cvt_u32_f32 s40, s2
	s_delay_alu instid0(SALU_CYCLE_3) | instskip(NEXT) | instid1(SALU_CYCLE_1)
	s_mul_u64 s[44:45], s[42:43], s[40:41]
	s_mul_hi_u32 s47, s40, s45
	s_mul_i32 s46, s40, s45
	s_mul_hi_u32 s14, s40, s44
	s_mul_i32 s37, s41, s44
	s_add_nc_u64 s[46:47], s[14:15], s[46:47]
	s_mul_hi_u32 s2, s41, s44
	s_mul_hi_u32 s48, s41, s45
	s_add_co_u32 s14, s46, s37
	s_add_co_ci_u32 s14, s47, s2
	s_mul_i32 s44, s41, s45
	s_add_co_ci_u32 s45, s48, 0
	s_delay_alu instid0(SALU_CYCLE_1) | instskip(NEXT) | instid1(SALU_CYCLE_1)
	s_add_nc_u64 s[44:45], s[14:15], s[44:45]
	s_add_co_u32 s40, s40, s44
	s_cselect_b32 s2, -1, 0
	s_delay_alu instid0(SALU_CYCLE_1) | instskip(SKIP_1) | instid1(SALU_CYCLE_1)
	s_cmp_lg_u32 s2, 0
	s_add_co_ci_u32 s41, s41, s45
	s_mul_u64 s[42:43], s[42:43], s[40:41]
	s_delay_alu instid0(SALU_CYCLE_1)
	s_mul_hi_u32 s45, s40, s43
	s_mul_i32 s44, s40, s43
	s_mul_hi_u32 s14, s40, s42
	s_mul_i32 s37, s41, s42
	s_add_nc_u64 s[44:45], s[14:15], s[44:45]
	s_mul_hi_u32 s2, s41, s42
	s_mul_hi_u32 s46, s41, s43
	s_add_co_u32 s14, s44, s37
	s_add_co_ci_u32 s14, s45, s2
	s_mul_i32 s42, s41, s43
	s_add_co_ci_u32 s43, s46, 0
	s_delay_alu instid0(SALU_CYCLE_1) | instskip(NEXT) | instid1(SALU_CYCLE_1)
	s_add_nc_u64 s[42:43], s[14:15], s[42:43]
	s_add_co_u32 s2, s40, s42
	s_cselect_b32 s14, -1, 0
	v_mul_hi_u32 v24, v16, s2
	s_cmp_lg_u32 s14, 0
	s_add_co_ci_u32 s14, s41, s43
	s_and_b64 s[40:41], s[2:3], s[24:25]
	v_mul_u64_e32 v[18:19], s[14:15], v[16:17]
	v_mul_u64_e32 v[8:9], s[40:41], v[20:21]
	;; [unrolled: 1-line block ×3, first 2 shown]
	s_delay_alu instid0(VALU_DEP_3) | instskip(NEXT) | instid1(VALU_DEP_1)
	v_add_nc_u64_e32 v[18:19], v[24:25], v[18:19]
	v_add_co_u32 v1, vcc_lo, v18, v8
	s_delay_alu instid0(VALU_DEP_2) | instskip(NEXT) | instid1(VALU_DEP_4)
	v_add_co_ci_u32_e32 v24, vcc_lo, v19, v9, vcc_lo
	v_add_co_ci_u32_e32 v23, vcc_lo, 0, v23, vcc_lo
	s_delay_alu instid0(VALU_DEP_1) | instskip(NEXT) | instid1(VALU_DEP_1)
	v_add_nc_u64_e32 v[8:9], v[24:25], v[22:23]
	v_mul_u64_e32 v[18:19], s[38:39], v[8:9]
	s_delay_alu instid0(VALU_DEP_1) | instskip(NEXT) | instid1(VALU_DEP_2)
	v_sub_nc_u32_e32 v1, v20, v19
	v_sub_co_u32 v11, vcc_lo, v16, v18
	s_delay_alu instid0(VALU_DEP_1) | instskip(NEXT) | instid1(VALU_DEP_3)
	v_sub_co_ci_u32_e64 v15, null, v20, v19, vcc_lo
	v_subrev_co_ci_u32_e64 v1, null, s39, v1, vcc_lo
	s_delay_alu instid0(VALU_DEP_3) | instskip(SKIP_1) | instid1(VALU_DEP_3)
	v_sub_co_u32 v13, s2, v11, s38
	v_add_nc_u64_e32 v[18:19], 1, v[8:9]
	v_subrev_co_ci_u32_e64 v1, null, 0, v1, s2
	s_delay_alu instid0(VALU_DEP_3) | instskip(SKIP_1) | instid1(VALU_DEP_3)
	v_cmp_le_u32_e32 vcc_lo, s38, v13
	v_cndmask_b32_e64 v13, 0, -1, vcc_lo
	v_cmp_le_u32_e32 vcc_lo, s39, v1
	v_cndmask_b32_e64 v16, 0, -1, vcc_lo
	;; [unrolled: 2-line block ×4, first 2 shown]
	v_cmp_eq_u32_e32 vcc_lo, s39, v1
	v_cndmask_b32_e32 v1, v16, v13, vcc_lo
	v_cmp_eq_u32_e32 vcc_lo, s39, v15
	v_add_nc_u64_e32 v[16:17], 2, v[8:9]
	v_cndmask_b32_e32 v11, v20, v11, vcc_lo
	s_delay_alu instid0(VALU_DEP_4) | instskip(NEXT) | instid1(VALU_DEP_2)
	v_cmp_ne_u32_e32 vcc_lo, 0, v1
	v_cmp_ne_u32_e64 s2, 0, v11
	s_delay_alu instid0(VALU_DEP_4) | instskip(NEXT) | instid1(VALU_DEP_1)
	v_dual_cndmask_b32 v1, v19, v17, vcc_lo :: v_dual_cndmask_b32 v11, v18, v16, vcc_lo
	v_dual_cndmask_b32 v1, v9, v1, s2 :: v_dual_cndmask_b32 v8, v8, v11, s2
	s_delay_alu instid0(VALU_DEP_1) | instskip(NEXT) | instid1(VALU_DEP_2)
	v_dual_mov_b32 v11, v10 :: v_dual_bitop2_b32 v9, v1, v10 bitop3:0x14
	v_xor_b32_e32 v8, v8, v10
	s_delay_alu instid0(VALU_DEP_1)
	v_sub_nc_u64_e32 v[16:17], v[8:9], v[10:11]
                                        ; implicit-def: $vgpr10
                                        ; implicit-def: $vgpr8_vgpr9
	s_and_not1_saveexec_b32 s2, s3
	s_cbranch_execz .LBB11_37
.LBB11_39:                              ;   in Loop: Header=BB11_27 Depth=2
	v_rcp_iflag_f32_e32 v1, v10
	s_sub_co_i32 s3, 0, s18
	v_nop
	s_delay_alu instid0(TRANS32_DEP_1) | instskip(NEXT) | instid1(VALU_DEP_1)
	v_mul_f32_e32 v1, 0x4f7ffffe, v1
	v_cvt_u32_f32_e32 v1, v1
	s_delay_alu instid0(VALU_DEP_1) | instskip(NEXT) | instid1(VALU_DEP_1)
	v_mul_lo_u32 v9, s3, v1
	v_mul_hi_u32 v9, v1, v9
	s_delay_alu instid0(VALU_DEP_1) | instskip(NEXT) | instid1(VALU_DEP_1)
	v_add_nc_u32_e32 v1, v1, v9
	v_mul_hi_u32 v1, v8, v1
	s_delay_alu instid0(VALU_DEP_1) | instskip(NEXT) | instid1(VALU_DEP_1)
	v_mul_lo_u32 v9, v1, s18
	v_sub_nc_u32_e32 v8, v8, v9
	v_add_nc_u32_e32 v9, 1, v1
	s_delay_alu instid0(VALU_DEP_2) | instskip(SKIP_1) | instid1(VALU_DEP_2)
	v_subrev_nc_u32_e32 v10, s18, v8
	v_cmp_le_u32_e32 vcc_lo, s18, v8
	v_dual_cndmask_b32 v8, v8, v10 :: v_dual_cndmask_b32 v1, v1, v9
	s_delay_alu instid0(VALU_DEP_1) | instskip(NEXT) | instid1(VALU_DEP_2)
	v_cmp_le_u32_e32 vcc_lo, s18, v8
	v_add_nc_u32_e32 v9, 1, v1
	s_delay_alu instid0(VALU_DEP_1) | instskip(SKIP_1) | instid1(SALU_CYCLE_1)
	v_cndmask_b32_e32 v16, v1, v9, vcc_lo
	s_or_b32 exec_lo, exec_lo, s2
	s_and_not1_b32 vcc_lo, exec_lo, s50
	s_cbranch_vccnz .LBB11_26
.LBB11_40:                              ;   in Loop: Header=BB11_27 Depth=2
	v_mad_u32 v8, v12, s22, v14
	v_add_nc_u32_e32 v38, 1, v16
	s_mov_b64 s[36:37], s[28:29]
	s_mov_b32 s38, s4
	s_delay_alu instid0(VALU_DEP_2) | instskip(NEXT) | instid1(VALU_DEP_2)
	v_ashrrev_i32_e32 v9, 31, v8
	v_cmp_gt_i32_e64 s2, v38, v8
	s_delay_alu instid0(VALU_DEP_2) | instskip(NEXT) | instid1(VALU_DEP_1)
	v_add_nc_u64_e32 v[18:19], 1, v[8:9]
	v_mad_nc_u64_u32 v[10:11], s18, v18, -1
	s_delay_alu instid0(VALU_DEP_1) | instskip(SKIP_2) | instid1(VALU_DEP_2)
	v_mad_u32 v1, s19, v18, v11
	v_add_nc_u32_e32 v11, v36, v12
	v_lshl_add_u64 v[12:13], v[6:7], 1, v[4:5]
	v_mad_u32 v37, s9, v11, v14
	s_delay_alu instid0(VALU_DEP_4)
	v_mad_u32 v11, s18, v19, v1
	s_branch .LBB11_42
.LBB11_41:                              ;   in Loop: Header=BB11_42 Depth=3
	s_or_b32 exec_lo, exec_lo, s39
	s_add_co_i32 s38, s38, 1
	s_add_nc_u64 s[36:37], s[36:37], s[30:31]
	s_cmp_lt_i32 s38, s33
	s_cbranch_scc0 .LBB11_26
.LBB11_42:                              ;   Parent Loop BB11_12 Depth=1
                                        ;     Parent Loop BB11_27 Depth=2
                                        ; =>    This Loop Header: Depth=3
                                        ;         Child Loop BB11_54 Depth 4
                                        ;           Child Loop BB11_69 Depth 5
	s_ashr_i32 s39, s38, 31
	s_delay_alu instid0(SALU_CYCLE_1) | instskip(NEXT) | instid1(SALU_CYCLE_1)
	s_add_nc_u64 s[40:41], s[38:39], 1
	s_mul_u64 s[40:41], s[40:41], s[10:11]
	s_delay_alu instid0(SALU_CYCLE_1) | instskip(NEXT) | instid1(SALU_CYCLE_1)
	s_add_nc_u64 s[42:43], s[40:41], -1
	s_or_b64 s[40:41], s[42:43], s[12:13]
	s_delay_alu instid0(SALU_CYCLE_1) | instskip(NEXT) | instid1(SALU_CYCLE_1)
	s_and_b64 s[40:41], s[40:41], 0xffffffff00000000
	s_cmp_lg_u64 s[40:41], 0
	s_cbranch_scc0 .LBB11_81
; %bb.43:                               ;   in Loop: Header=BB11_42 Depth=3
	s_ashr_i32 s40, s13, 31
	s_delay_alu instid0(SALU_CYCLE_1) | instskip(NEXT) | instid1(SALU_CYCLE_1)
	s_mov_b32 s41, s40
	s_add_nc_u64 s[44:45], s[12:13], s[40:41]
	s_delay_alu instid0(SALU_CYCLE_1) | instskip(NEXT) | instid1(SALU_CYCLE_1)
	s_xor_b64 s[44:45], s[44:45], s[40:41]
	s_cvt_f32_u32 s3, s44
	s_cvt_f32_u32 s14, s45
	s_sub_nc_u64 s[48:49], 0, s[44:45]
	s_delay_alu instid0(SALU_CYCLE_2) | instskip(NEXT) | instid1(SALU_CYCLE_3)
	s_fmamk_f32 s3, s14, 0x4f800000, s3
	v_s_rcp_f32 s3, s3
	s_delay_alu instid0(TRANS32_DEP_1) | instskip(NEXT) | instid1(SALU_CYCLE_3)
	s_mul_f32 s3, s3, 0x5f7ffffc
	s_mul_f32 s14, s3, 0x2f800000
	s_delay_alu instid0(SALU_CYCLE_3) | instskip(NEXT) | instid1(SALU_CYCLE_3)
	s_trunc_f32 s14, s14
	s_fmamk_f32 s3, s14, 0xcf800000, s3
	s_cvt_u32_f32 s47, s14
	s_delay_alu instid0(SALU_CYCLE_2) | instskip(NEXT) | instid1(SALU_CYCLE_3)
	s_cvt_u32_f32 s46, s3
	s_mul_u64 s[56:57], s[48:49], s[46:47]
	s_delay_alu instid0(SALU_CYCLE_1)
	s_mul_hi_u32 s59, s46, s57
	s_mul_i32 s58, s46, s57
	s_mul_hi_u32 s14, s46, s56
	s_mul_i32 s60, s47, s56
	s_add_nc_u64 s[58:59], s[14:15], s[58:59]
	s_mul_hi_u32 s3, s47, s56
	s_mul_hi_u32 s61, s47, s57
	s_add_co_u32 s14, s58, s60
	s_add_co_ci_u32 s14, s59, s3
	s_mul_i32 s56, s47, s57
	s_add_co_ci_u32 s57, s61, 0
	s_delay_alu instid0(SALU_CYCLE_1) | instskip(NEXT) | instid1(SALU_CYCLE_1)
	s_add_nc_u64 s[56:57], s[14:15], s[56:57]
	s_add_co_u32 s46, s46, s56
	s_cselect_b32 s3, -1, 0
	s_delay_alu instid0(SALU_CYCLE_1) | instskip(SKIP_1) | instid1(SALU_CYCLE_1)
	s_cmp_lg_u32 s3, 0
	s_add_co_ci_u32 s47, s47, s57
	s_mul_u64 s[48:49], s[48:49], s[46:47]
	s_delay_alu instid0(SALU_CYCLE_1)
	s_mul_hi_u32 s57, s46, s49
	s_mul_i32 s56, s46, s49
	s_mul_hi_u32 s14, s46, s48
	s_mul_i32 s58, s47, s48
	s_add_nc_u64 s[56:57], s[14:15], s[56:57]
	s_mul_hi_u32 s3, s47, s48
	s_mul_hi_u32 s59, s47, s49
	s_add_co_u32 s14, s56, s58
	s_add_co_ci_u32 s14, s57, s3
	s_mul_i32 s48, s47, s49
	s_add_co_ci_u32 s49, s59, 0
	s_delay_alu instid0(SALU_CYCLE_1) | instskip(NEXT) | instid1(SALU_CYCLE_1)
	s_add_nc_u64 s[48:49], s[14:15], s[48:49]
	s_add_co_u32 s3, s46, s48
	s_cselect_b32 s14, -1, 0
	s_delay_alu instid0(SALU_CYCLE_1) | instskip(SKIP_2) | instid1(SALU_CYCLE_1)
	s_cmp_lg_u32 s14, 0
	s_add_co_ci_u32 s58, s47, s49
	s_ashr_i32 s46, s43, 31
	s_mov_b32 s47, s46
	s_delay_alu instid0(SALU_CYCLE_1) | instskip(NEXT) | instid1(SALU_CYCLE_1)
	s_add_nc_u64 s[48:49], s[42:43], s[46:47]
	s_xor_b64 s[48:49], s[48:49], s[46:47]
	s_delay_alu instid0(SALU_CYCLE_1)
	s_mul_hi_u32 s57, s48, s58
	s_mul_i32 s56, s48, s58
	s_mul_hi_u32 s14, s48, s3
	s_mul_hi_u32 s59, s49, s3
	s_mul_i32 s3, s49, s3
	s_add_nc_u64 s[56:57], s[14:15], s[56:57]
	s_mul_hi_u32 s43, s49, s58
	s_add_co_u32 s3, s56, s3
	s_add_co_ci_u32 s14, s57, s59
	s_mul_i32 s58, s49, s58
	s_add_co_ci_u32 s59, s43, 0
	s_delay_alu instid0(SALU_CYCLE_1) | instskip(NEXT) | instid1(SALU_CYCLE_1)
	s_add_nc_u64 s[56:57], s[14:15], s[58:59]
	s_and_b64 s[58:59], s[56:57], 0xffffffff00000000
	s_delay_alu instid0(SALU_CYCLE_1) | instskip(NEXT) | instid1(SALU_CYCLE_1)
	s_or_b32 s58, s58, s56
	s_mul_u64 s[56:57], s[44:45], s[58:59]
	s_add_nc_u64 s[60:61], s[58:59], 1
	s_sub_co_u32 s3, s48, s56
	s_cselect_b32 s14, -1, 0
	s_sub_co_i32 s43, s49, s57
	s_cmp_lg_u32 s14, 0
	s_add_nc_u64 s[62:63], s[58:59], 2
	s_sub_co_ci_u32 s43, s43, s45
	s_sub_co_u32 s48, s3, s44
	s_cselect_b32 s56, -1, 0
	s_delay_alu instid0(SALU_CYCLE_1) | instskip(SKIP_1) | instid1(SALU_CYCLE_1)
	s_cmp_lg_u32 s56, 0
	s_sub_co_ci_u32 s43, s43, 0
	s_cmp_ge_u32 s43, s45
	s_cselect_b32 s56, -1, 0
	s_cmp_ge_u32 s48, s44
	s_cselect_b32 s48, -1, 0
	s_cmp_eq_u32 s43, s45
	s_cselect_b32 s43, s48, s56
	s_delay_alu instid0(SALU_CYCLE_1) | instskip(SKIP_4) | instid1(SALU_CYCLE_1)
	s_cmp_lg_u32 s43, 0
	s_cselect_b32 s43, s62, s60
	s_cselect_b32 s48, s63, s61
	s_cmp_lg_u32 s14, 0
	s_sub_co_ci_u32 s14, s49, s57
	s_cmp_ge_u32 s14, s45
	s_cselect_b32 s49, -1, 0
	s_cmp_ge_u32 s3, s44
	s_cselect_b32 s3, -1, 0
	s_cmp_eq_u32 s14, s45
	s_cselect_b32 s3, s3, s49
	s_delay_alu instid0(SALU_CYCLE_1) | instskip(SKIP_3) | instid1(SALU_CYCLE_1)
	s_cmp_lg_u32 s3, 0
	s_cselect_b32 s45, s48, s59
	s_cselect_b32 s44, s43, s58
	s_xor_b64 s[40:41], s[46:47], s[40:41]
	s_xor_b64 s[44:45], s[44:45], s[40:41]
	s_delay_alu instid0(SALU_CYCLE_1) | instskip(SKIP_1) | instid1(VALU_DEP_1)
	s_sub_nc_u64 s[40:41], s[44:45], s[40:41]
	v_cvt_f32_u32_e32 v1, s12
	v_rcp_iflag_f32_e32 v1, v1
	s_cbranch_execnz .LBB11_45
.LBB11_44:                              ;   in Loop: Header=BB11_42 Depth=3
	v_nop
	s_delay_alu instid0(TRANS32_DEP_1) | instskip(SKIP_1) | instid1(VALU_DEP_1)
	v_mul_f32_e32 v7, 0x4f7ffffe, v1
	s_sub_co_i32 s14, 0, s12
	v_cvt_u32_f32_e32 v7, v7
	s_delay_alu instid0(VALU_DEP_1) | instskip(SKIP_1) | instid1(SALU_CYCLE_1)
	v_readfirstlane_b32 s3, v7
	s_mul_i32 s14, s14, s3
	s_mul_hi_u32 s14, s3, s14
	s_delay_alu instid0(SALU_CYCLE_1) | instskip(NEXT) | instid1(SALU_CYCLE_1)
	s_add_co_i32 s3, s3, s14
	s_mul_hi_u32 s3, s42, s3
	s_delay_alu instid0(SALU_CYCLE_1) | instskip(SKIP_2) | instid1(SALU_CYCLE_1)
	s_mul_i32 s14, s3, s12
	s_add_co_i32 s40, s3, 1
	s_sub_co_i32 s14, s42, s14
	s_sub_co_i32 s41, s14, s12
	s_cmp_ge_u32 s14, s12
	s_cselect_b32 s3, s40, s3
	s_cselect_b32 s14, s41, s14
	s_add_co_i32 s40, s3, 1
	s_cmp_ge_u32 s14, s12
	s_cselect_b32 s40, s40, s3
.LBB11_45:                              ;   in Loop: Header=BB11_42 Depth=3
	s_or_b64 s[42:43], s[38:39], s[12:13]
	s_delay_alu instid0(SALU_CYCLE_1) | instskip(NEXT) | instid1(SALU_CYCLE_1)
	s_and_b64 s[42:43], s[42:43], 0xffffffff00000000
	s_cmp_lg_u64 s[42:43], 0
	s_cbranch_scc0 .LBB11_82
; %bb.46:                               ;   in Loop: Header=BB11_42 Depth=3
	s_ashr_i32 s42, s13, 31
	s_delay_alu instid0(SALU_CYCLE_1) | instskip(NEXT) | instid1(SALU_CYCLE_1)
	s_mov_b32 s43, s42
	s_add_nc_u64 s[44:45], s[12:13], s[42:43]
	s_delay_alu instid0(SALU_CYCLE_1) | instskip(NEXT) | instid1(SALU_CYCLE_1)
	s_xor_b64 s[44:45], s[44:45], s[42:43]
	s_cvt_f32_u32 s3, s44
	s_cvt_f32_u32 s14, s45
	s_sub_nc_u64 s[48:49], 0, s[44:45]
	s_delay_alu instid0(SALU_CYCLE_2) | instskip(NEXT) | instid1(SALU_CYCLE_3)
	s_fmamk_f32 s3, s14, 0x4f800000, s3
	v_s_rcp_f32 s3, s3
	s_delay_alu instid0(TRANS32_DEP_1) | instskip(NEXT) | instid1(SALU_CYCLE_3)
	s_mul_f32 s3, s3, 0x5f7ffffc
	s_mul_f32 s14, s3, 0x2f800000
	s_delay_alu instid0(SALU_CYCLE_3) | instskip(NEXT) | instid1(SALU_CYCLE_3)
	s_trunc_f32 s14, s14
	s_fmamk_f32 s3, s14, 0xcf800000, s3
	s_cvt_u32_f32 s47, s14
	s_delay_alu instid0(SALU_CYCLE_2) | instskip(NEXT) | instid1(SALU_CYCLE_3)
	s_cvt_u32_f32 s46, s3
	s_mul_u64 s[56:57], s[48:49], s[46:47]
	s_delay_alu instid0(SALU_CYCLE_1)
	s_mul_hi_u32 s59, s46, s57
	s_mul_i32 s58, s46, s57
	s_mul_hi_u32 s14, s46, s56
	s_mul_i32 s41, s47, s56
	s_add_nc_u64 s[58:59], s[14:15], s[58:59]
	s_mul_hi_u32 s3, s47, s56
	s_mul_hi_u32 s60, s47, s57
	s_add_co_u32 s14, s58, s41
	s_add_co_ci_u32 s14, s59, s3
	s_mul_i32 s56, s47, s57
	s_add_co_ci_u32 s57, s60, 0
	s_delay_alu instid0(SALU_CYCLE_1) | instskip(NEXT) | instid1(SALU_CYCLE_1)
	s_add_nc_u64 s[56:57], s[14:15], s[56:57]
	s_add_co_u32 s46, s46, s56
	s_cselect_b32 s3, -1, 0
	s_delay_alu instid0(SALU_CYCLE_1) | instskip(SKIP_1) | instid1(SALU_CYCLE_1)
	s_cmp_lg_u32 s3, 0
	s_add_co_ci_u32 s47, s47, s57
	s_mul_u64 s[48:49], s[48:49], s[46:47]
	s_delay_alu instid0(SALU_CYCLE_1)
	s_mul_hi_u32 s57, s46, s49
	s_mul_i32 s56, s46, s49
	s_mul_hi_u32 s14, s46, s48
	s_mul_i32 s41, s47, s48
	s_add_nc_u64 s[56:57], s[14:15], s[56:57]
	s_mul_hi_u32 s3, s47, s48
	s_mul_hi_u32 s58, s47, s49
	s_add_co_u32 s14, s56, s41
	s_add_co_ci_u32 s14, s57, s3
	s_mul_i32 s48, s47, s49
	s_add_co_ci_u32 s49, s58, 0
	s_delay_alu instid0(SALU_CYCLE_1) | instskip(NEXT) | instid1(SALU_CYCLE_1)
	s_add_nc_u64 s[48:49], s[14:15], s[48:49]
	s_add_co_u32 s3, s46, s48
	s_cselect_b32 s14, -1, 0
	s_delay_alu instid0(SALU_CYCLE_1) | instskip(SKIP_2) | instid1(SALU_CYCLE_1)
	s_cmp_lg_u32 s14, 0
	s_add_co_ci_u32 s41, s47, s49
	s_ashr_i32 s46, s39, 31
	s_mov_b32 s47, s46
	s_delay_alu instid0(SALU_CYCLE_1) | instskip(NEXT) | instid1(SALU_CYCLE_1)
	s_add_nc_u64 s[48:49], s[38:39], s[46:47]
	s_xor_b64 s[48:49], s[48:49], s[46:47]
	s_delay_alu instid0(SALU_CYCLE_1)
	s_mul_hi_u32 s57, s48, s41
	s_mul_i32 s56, s48, s41
	s_mul_hi_u32 s14, s48, s3
	s_mul_hi_u32 s60, s49, s3
	s_mul_i32 s3, s49, s3
	s_add_nc_u64 s[56:57], s[14:15], s[56:57]
	s_mul_hi_u32 s59, s49, s41
	s_add_co_u32 s3, s56, s3
	s_add_co_ci_u32 s14, s57, s60
	s_mul_i32 s58, s49, s41
	s_add_co_ci_u32 s59, s59, 0
	s_delay_alu instid0(SALU_CYCLE_1) | instskip(NEXT) | instid1(SALU_CYCLE_1)
	s_add_nc_u64 s[56:57], s[14:15], s[58:59]
	s_and_b64 s[58:59], s[56:57], 0xffffffff00000000
	s_delay_alu instid0(SALU_CYCLE_1) | instskip(NEXT) | instid1(SALU_CYCLE_1)
	s_or_b32 s58, s58, s56
	s_mul_u64 s[56:57], s[44:45], s[58:59]
	s_add_nc_u64 s[60:61], s[58:59], 1
	s_sub_co_u32 s3, s48, s56
	s_cselect_b32 s14, -1, 0
	s_sub_co_i32 s41, s49, s57
	s_cmp_lg_u32 s14, 0
	s_add_nc_u64 s[62:63], s[58:59], 2
	s_sub_co_ci_u32 s41, s41, s45
	s_sub_co_u32 s48, s3, s44
	s_cselect_b32 s56, -1, 0
	s_delay_alu instid0(SALU_CYCLE_1) | instskip(SKIP_1) | instid1(SALU_CYCLE_1)
	s_cmp_lg_u32 s56, 0
	s_sub_co_ci_u32 s41, s41, 0
	s_cmp_ge_u32 s41, s45
	s_cselect_b32 s56, -1, 0
	s_cmp_ge_u32 s48, s44
	s_cselect_b32 s48, -1, 0
	s_cmp_eq_u32 s41, s45
	s_cselect_b32 s41, s48, s56
	s_delay_alu instid0(SALU_CYCLE_1) | instskip(SKIP_4) | instid1(SALU_CYCLE_1)
	s_cmp_lg_u32 s41, 0
	s_cselect_b32 s41, s62, s60
	s_cselect_b32 s48, s63, s61
	s_cmp_lg_u32 s14, 0
	s_sub_co_ci_u32 s14, s49, s57
	s_cmp_ge_u32 s14, s45
	s_cselect_b32 s49, -1, 0
	s_cmp_ge_u32 s3, s44
	s_cselect_b32 s3, -1, 0
	s_cmp_eq_u32 s14, s45
	s_cselect_b32 s3, s3, s49
	s_delay_alu instid0(SALU_CYCLE_1) | instskip(SKIP_3) | instid1(SALU_CYCLE_1)
	s_cmp_lg_u32 s3, 0
	s_cselect_b32 s45, s48, s59
	s_cselect_b32 s44, s41, s58
	s_xor_b64 s[42:43], s[46:47], s[42:43]
	s_xor_b64 s[44:45], s[44:45], s[42:43]
	s_delay_alu instid0(SALU_CYCLE_1)
	s_sub_nc_u64 s[42:43], s[44:45], s[42:43]
	s_cbranch_execnz .LBB11_48
.LBB11_47:                              ;   in Loop: Header=BB11_42 Depth=3
	v_nop
	v_mul_f32_e32 v7, 0x4f7ffffe, v1
	s_sub_co_i32 s14, 0, s12
	s_delay_alu instid0(VALU_DEP_1) | instskip(NEXT) | instid1(VALU_DEP_1)
	v_cvt_u32_f32_e32 v7, v7
	v_readfirstlane_b32 s3, v7
	s_mul_i32 s14, s14, s3
	s_delay_alu instid0(SALU_CYCLE_1) | instskip(NEXT) | instid1(SALU_CYCLE_1)
	s_mul_hi_u32 s14, s3, s14
	s_add_co_i32 s3, s3, s14
	s_delay_alu instid0(SALU_CYCLE_1) | instskip(NEXT) | instid1(SALU_CYCLE_1)
	s_mul_hi_u32 s3, s38, s3
	s_mul_i32 s14, s3, s12
	s_add_co_i32 s41, s3, 1
	s_sub_co_i32 s14, s38, s14
	s_delay_alu instid0(SALU_CYCLE_1)
	s_sub_co_i32 s42, s14, s12
	s_cmp_ge_u32 s14, s12
	s_cselect_b32 s3, s41, s3
	s_cselect_b32 s14, s42, s14
	s_add_co_i32 s41, s3, 1
	s_cmp_ge_u32 s14, s12
	s_cselect_b32 s14, s41, s3
	s_delay_alu instid0(SALU_CYCLE_1)
	s_mov_b64 s[42:43], s[14:15]
.LBB11_48:                              ;   in Loop: Header=BB11_42 Depth=3
	s_delay_alu instid0(SALU_CYCLE_1) | instskip(NEXT) | instid1(SALU_CYCLE_1)
	s_mul_u64 s[44:45], s[42:43], s[12:13]
	s_sub_nc_u64 s[44:45], s[38:39], s[44:45]
	s_delay_alu instid0(SALU_CYCLE_1) | instskip(NEXT) | instid1(SALU_CYCLE_1)
	s_mul_u64 s[44:45], s[44:45], s[10:11]
	s_or_b64 s[46:47], s[44:45], s[12:13]
	s_delay_alu instid0(SALU_CYCLE_1) | instskip(NEXT) | instid1(SALU_CYCLE_1)
	s_and_b64 s[46:47], s[46:47], 0xffffffff00000000
	s_cmp_lg_u64 s[46:47], 0
	s_cbranch_scc0 .LBB11_83
; %bb.49:                               ;   in Loop: Header=BB11_42 Depth=3
	s_ashr_i32 s46, s13, 31
	s_delay_alu instid0(SALU_CYCLE_1) | instskip(NEXT) | instid1(SALU_CYCLE_1)
	s_mov_b32 s47, s46
	s_add_nc_u64 s[48:49], s[12:13], s[46:47]
	s_delay_alu instid0(SALU_CYCLE_1) | instskip(NEXT) | instid1(SALU_CYCLE_1)
	s_xor_b64 s[48:49], s[48:49], s[46:47]
	s_cvt_f32_u32 s3, s48
	s_cvt_f32_u32 s14, s49
	s_sub_nc_u64 s[58:59], 0, s[48:49]
	s_delay_alu instid0(SALU_CYCLE_2) | instskip(NEXT) | instid1(SALU_CYCLE_3)
	s_fmamk_f32 s3, s14, 0x4f800000, s3
	v_s_rcp_f32 s3, s3
	s_delay_alu instid0(TRANS32_DEP_1) | instskip(NEXT) | instid1(SALU_CYCLE_3)
	s_mul_f32 s3, s3, 0x5f7ffffc
	s_mul_f32 s14, s3, 0x2f800000
	s_delay_alu instid0(SALU_CYCLE_3) | instskip(NEXT) | instid1(SALU_CYCLE_3)
	s_trunc_f32 s14, s14
	s_fmamk_f32 s3, s14, 0xcf800000, s3
	s_cvt_u32_f32 s57, s14
	s_delay_alu instid0(SALU_CYCLE_2) | instskip(NEXT) | instid1(SALU_CYCLE_3)
	s_cvt_u32_f32 s56, s3
	s_mul_u64 s[60:61], s[58:59], s[56:57]
	s_delay_alu instid0(SALU_CYCLE_1)
	s_mul_hi_u32 s63, s56, s61
	s_mul_i32 s62, s56, s61
	s_mul_hi_u32 s14, s56, s60
	s_mul_i32 s39, s57, s60
	s_add_nc_u64 s[62:63], s[14:15], s[62:63]
	s_mul_hi_u32 s3, s57, s60
	s_mul_hi_u32 s41, s57, s61
	s_add_co_u32 s14, s62, s39
	s_add_co_ci_u32 s14, s63, s3
	s_mul_i32 s60, s57, s61
	s_add_co_ci_u32 s61, s41, 0
	s_delay_alu instid0(SALU_CYCLE_1) | instskip(NEXT) | instid1(SALU_CYCLE_1)
	s_add_nc_u64 s[60:61], s[14:15], s[60:61]
	s_add_co_u32 s56, s56, s60
	s_cselect_b32 s3, -1, 0
	s_delay_alu instid0(SALU_CYCLE_1) | instskip(SKIP_1) | instid1(SALU_CYCLE_1)
	s_cmp_lg_u32 s3, 0
	s_add_co_ci_u32 s57, s57, s61
	s_mul_u64 s[58:59], s[58:59], s[56:57]
	s_delay_alu instid0(SALU_CYCLE_1)
	s_mul_hi_u32 s61, s56, s59
	s_mul_i32 s60, s56, s59
	s_mul_hi_u32 s14, s56, s58
	s_mul_i32 s39, s57, s58
	s_add_nc_u64 s[60:61], s[14:15], s[60:61]
	s_mul_hi_u32 s3, s57, s58
	s_mul_hi_u32 s41, s57, s59
	s_add_co_u32 s14, s60, s39
	s_add_co_ci_u32 s14, s61, s3
	s_mul_i32 s58, s57, s59
	s_add_co_ci_u32 s59, s41, 0
	s_delay_alu instid0(SALU_CYCLE_1) | instskip(NEXT) | instid1(SALU_CYCLE_1)
	s_add_nc_u64 s[58:59], s[14:15], s[58:59]
	s_add_co_u32 s3, s56, s58
	s_cselect_b32 s14, -1, 0
	s_delay_alu instid0(SALU_CYCLE_1) | instskip(SKIP_2) | instid1(SALU_CYCLE_1)
	s_cmp_lg_u32 s14, 0
	s_add_co_ci_u32 s39, s57, s59
	s_ashr_i32 s56, s45, 31
	s_mov_b32 s57, s56
	s_delay_alu instid0(SALU_CYCLE_1) | instskip(NEXT) | instid1(SALU_CYCLE_1)
	s_add_nc_u64 s[58:59], s[44:45], s[56:57]
	s_xor_b64 s[58:59], s[58:59], s[56:57]
	s_delay_alu instid0(SALU_CYCLE_1)
	s_mul_hi_u32 s61, s58, s39
	s_mul_i32 s60, s58, s39
	s_mul_hi_u32 s14, s58, s3
	s_mul_hi_u32 s43, s59, s3
	s_mul_i32 s3, s59, s3
	s_add_nc_u64 s[60:61], s[14:15], s[60:61]
	s_mul_hi_u32 s41, s59, s39
	s_add_co_u32 s3, s60, s3
	s_add_co_ci_u32 s14, s61, s43
	s_mul_i32 s62, s59, s39
	s_add_co_ci_u32 s63, s41, 0
	s_delay_alu instid0(SALU_CYCLE_1) | instskip(NEXT) | instid1(SALU_CYCLE_1)
	s_add_nc_u64 s[60:61], s[14:15], s[62:63]
	s_and_b64 s[62:63], s[60:61], 0xffffffff00000000
	s_delay_alu instid0(SALU_CYCLE_1) | instskip(NEXT) | instid1(SALU_CYCLE_1)
	s_or_b32 s62, s62, s60
	s_mul_u64 s[60:61], s[48:49], s[62:63]
	s_add_nc_u64 s[64:65], s[62:63], 1
	s_sub_co_u32 s3, s58, s60
	s_cselect_b32 s14, -1, 0
	s_sub_co_i32 s39, s59, s61
	s_cmp_lg_u32 s14, 0
	s_add_nc_u64 s[66:67], s[62:63], 2
	s_sub_co_ci_u32 s39, s39, s49
	s_sub_co_u32 s41, s3, s48
	s_cselect_b32 s43, -1, 0
	s_delay_alu instid0(SALU_CYCLE_1) | instskip(SKIP_1) | instid1(SALU_CYCLE_1)
	s_cmp_lg_u32 s43, 0
	s_sub_co_ci_u32 s39, s39, 0
	s_cmp_ge_u32 s39, s49
	s_cselect_b32 s43, -1, 0
	s_cmp_ge_u32 s41, s48
	s_cselect_b32 s41, -1, 0
	s_cmp_eq_u32 s39, s49
	s_cselect_b32 s39, s41, s43
	s_delay_alu instid0(SALU_CYCLE_1) | instskip(SKIP_4) | instid1(SALU_CYCLE_1)
	s_cmp_lg_u32 s39, 0
	s_cselect_b32 s39, s66, s64
	s_cselect_b32 s41, s67, s65
	s_cmp_lg_u32 s14, 0
	s_sub_co_ci_u32 s14, s59, s61
	s_cmp_ge_u32 s14, s49
	s_cselect_b32 s43, -1, 0
	s_cmp_ge_u32 s3, s48
	s_cselect_b32 s3, -1, 0
	s_cmp_eq_u32 s14, s49
	s_cselect_b32 s3, s3, s43
	s_delay_alu instid0(SALU_CYCLE_1) | instskip(SKIP_3) | instid1(SALU_CYCLE_1)
	s_cmp_lg_u32 s3, 0
	s_cselect_b32 s49, s41, s63
	s_cselect_b32 s48, s39, s62
	s_xor_b64 s[46:47], s[56:57], s[46:47]
	s_xor_b64 s[48:49], s[48:49], s[46:47]
	s_delay_alu instid0(SALU_CYCLE_1)
	s_sub_nc_u64 s[46:47], s[48:49], s[46:47]
	s_cbranch_execnz .LBB11_51
.LBB11_50:                              ;   in Loop: Header=BB11_42 Depth=3
	v_mul_f32_e32 v1, 0x4f7ffffe, v1
	s_sub_co_i32 s14, 0, s12
	s_delay_alu instid0(VALU_DEP_1) | instskip(NEXT) | instid1(VALU_DEP_1)
	v_cvt_u32_f32_e32 v1, v1
	v_readfirstlane_b32 s3, v1
	s_mul_i32 s14, s14, s3
	s_delay_alu instid0(SALU_CYCLE_1) | instskip(NEXT) | instid1(SALU_CYCLE_1)
	s_mul_hi_u32 s14, s3, s14
	s_add_co_i32 s3, s3, s14
	s_delay_alu instid0(SALU_CYCLE_1) | instskip(NEXT) | instid1(SALU_CYCLE_1)
	s_mul_hi_u32 s3, s44, s3
	s_mul_i32 s14, s3, s12
	s_add_co_i32 s39, s3, 1
	s_sub_co_i32 s14, s44, s14
	s_delay_alu instid0(SALU_CYCLE_1)
	s_sub_co_i32 s41, s14, s12
	s_cmp_ge_u32 s14, s12
	s_cselect_b32 s3, s39, s3
	s_cselect_b32 s14, s41, s14
	s_add_co_i32 s39, s3, 1
	s_cmp_ge_u32 s14, s12
	s_cselect_b32 s46, s39, s3
.LBB11_51:                              ;   in Loop: Header=BB11_42 Depth=3
	s_and_saveexec_b32 s39, s1
	s_cbranch_execz .LBB11_41
; %bb.52:                               ;   in Loop: Header=BB11_42 Depth=3
	s_mul_i32 s3, s42, s10
	v_dual_mov_b32 v14, v37 :: v_dual_mov_b32 v16, v3
	s_add_co_i32 s3, s3, s46
	s_mov_b32 s45, 0
	s_sub_co_i32 s44, s40, s3
	s_delay_alu instid0(SALU_CYCLE_1)
	s_add_co_i32 s44, s44, 1
	s_branch .LBB11_54
.LBB11_53:                              ;   in Loop: Header=BB11_54 Depth=4
	s_or_b32 exec_lo, exec_lo, s46
	v_dual_add_nc_u32 v16, 1, v16 :: v_dual_add_nc_u32 v14, s9, v14
	s_delay_alu instid0(VALU_DEP_1) | instskip(SKIP_1) | instid1(SALU_CYCLE_1)
	v_cmp_ge_i32_e32 vcc_lo, v16, v35
	s_or_b32 s45, vcc_lo, s45
	s_and_not1_b32 exec_lo, exec_lo, s45
	s_cbranch_execz .LBB11_41
.LBB11_54:                              ;   Parent Loop BB11_12 Depth=1
                                        ;     Parent Loop BB11_27 Depth=2
                                        ;       Parent Loop BB11_42 Depth=3
                                        ; =>      This Loop Header: Depth=4
                                        ;           Child Loop BB11_69 Depth 5
	s_and_saveexec_b32 s46, s2
	s_cbranch_execz .LBB11_53
; %bb.55:                               ;   in Loop: Header=BB11_54 Depth=4
	v_ashrrev_i32_e32 v17, 31, v16
	s_mov_b32 s3, exec_lo
	s_delay_alu instid0(VALU_DEP_1) | instskip(NEXT) | instid1(VALU_DEP_1)
	v_add_nc_u64_e32 v[18:19], 1, v[16:17]
	v_mad_nc_u64_u32 v[20:21], v18, s16, -1
	s_delay_alu instid0(VALU_DEP_1) | instskip(NEXT) | instid1(VALU_DEP_1)
	v_mad_u32 v1, v19, s16, v21
	v_mad_u32 v21, v18, s17, v1
                                        ; implicit-def: $vgpr18_vgpr19
	s_delay_alu instid0(VALU_DEP_1) | instskip(NEXT) | instid1(VALU_DEP_1)
	v_or_b32_e32 v1, s21, v21
	v_cmpx_ne_u64_e32 0, v[0:1]
	s_xor_b32 s47, exec_lo, s3
	s_cbranch_execz .LBB11_57
; %bb.56:                               ;   in Loop: Header=BB11_54 Depth=4
	s_ashr_i32 s40, s21, 31
	v_dual_mov_b32 v23, v0 :: v_dual_ashrrev_i32 v18, 31, v21
	s_mov_b32 s41, s40
	s_delay_alu instid0(SALU_CYCLE_1) | instskip(NEXT) | instid1(VALU_DEP_1)
	s_add_nc_u64 s[42:43], s[20:21], s[40:41]
	v_mov_b32_e32 v19, v18
	s_xor_b64 s[42:43], s[42:43], s[40:41]
	s_delay_alu instid0(SALU_CYCLE_1)
	s_cvt_f32_u32 s3, s42
	s_cvt_f32_u32 s14, s43
	s_sub_nc_u64 s[56:57], 0, s[42:43]
	v_add_nc_u64_e32 v[20:21], v[20:21], v[18:19]
	v_mov_b32_e32 v27, v0
	s_fmamk_f32 s3, s14, 0x4f800000, s3
	s_delay_alu instid0(SALU_CYCLE_3) | instskip(NEXT) | instid1(VALU_DEP_2)
	v_s_rcp_f32 s3, s3
	v_xor_b32_e32 v22, v20, v18
	s_delay_alu instid0(VALU_DEP_3) | instskip(SKIP_1) | instid1(TRANS32_DEP_1)
	v_dual_mov_b32 v31, v0 :: v_dual_bitop2_b32 v26, v21, v18 bitop3:0x14
	v_xor_b32_e32 v18, s40, v18
	s_mul_f32 s3, s3, 0x5f7ffffc
	s_delay_alu instid0(SALU_CYCLE_3) | instskip(NEXT) | instid1(SALU_CYCLE_3)
	s_mul_f32 s14, s3, 0x2f800000
	s_trunc_f32 s14, s14
	s_delay_alu instid0(SALU_CYCLE_3) | instskip(SKIP_1) | instid1(SALU_CYCLE_2)
	s_fmamk_f32 s3, s14, 0xcf800000, s3
	s_cvt_u32_f32 s49, s14
	s_cvt_u32_f32 s48, s3
	s_delay_alu instid0(SALU_CYCLE_3) | instskip(NEXT) | instid1(SALU_CYCLE_1)
	s_mul_u64 s[58:59], s[56:57], s[48:49]
	s_mul_hi_u32 s61, s48, s59
	s_mul_i32 s60, s48, s59
	s_mul_hi_u32 s14, s48, s58
	s_mul_i32 s41, s49, s58
	s_add_nc_u64 s[60:61], s[14:15], s[60:61]
	s_mul_hi_u32 s3, s49, s58
	s_mul_hi_u32 s62, s49, s59
	s_add_co_u32 s14, s60, s41
	s_add_co_ci_u32 s14, s61, s3
	s_mul_i32 s58, s49, s59
	s_add_co_ci_u32 s59, s62, 0
	s_delay_alu instid0(SALU_CYCLE_1) | instskip(NEXT) | instid1(SALU_CYCLE_1)
	s_add_nc_u64 s[58:59], s[14:15], s[58:59]
	s_add_co_u32 s48, s48, s58
	s_cselect_b32 s3, -1, 0
	s_delay_alu instid0(SALU_CYCLE_1) | instskip(SKIP_1) | instid1(SALU_CYCLE_1)
	s_cmp_lg_u32 s3, 0
	s_add_co_ci_u32 s49, s49, s59
	s_mul_u64 s[56:57], s[56:57], s[48:49]
	s_delay_alu instid0(SALU_CYCLE_1)
	s_mul_hi_u32 s59, s48, s57
	s_mul_i32 s58, s48, s57
	s_mul_hi_u32 s14, s48, s56
	s_mul_i32 s41, s49, s56
	s_add_nc_u64 s[58:59], s[14:15], s[58:59]
	s_mul_hi_u32 s3, s49, s56
	s_mul_hi_u32 s60, s49, s57
	s_add_co_u32 s14, s58, s41
	s_add_co_ci_u32 s14, s59, s3
	s_mul_i32 s56, s49, s57
	s_add_co_ci_u32 s57, s60, 0
	s_delay_alu instid0(SALU_CYCLE_1) | instskip(NEXT) | instid1(SALU_CYCLE_1)
	s_add_nc_u64 s[56:57], s[14:15], s[56:57]
	s_add_co_u32 s48, s48, s56
	s_cselect_b32 s3, -1, 0
	v_mul_hi_u32 v30, v22, s48
	s_cmp_lg_u32 s3, 0
	s_add_co_ci_u32 s14, s49, s57
	s_and_b64 s[56:57], s[48:49], s[24:25]
	v_mul_u64_e32 v[24:25], s[14:15], v[22:23]
	v_mul_u64_e32 v[20:21], s[56:57], v[26:27]
	v_mul_u64_e32 v[28:29], s[14:15], v[26:27]
	s_delay_alu instid0(VALU_DEP_3) | instskip(NEXT) | instid1(VALU_DEP_1)
	v_add_nc_u64_e32 v[24:25], v[30:31], v[24:25]
	v_add_co_u32 v1, vcc_lo, v24, v20
	s_delay_alu instid0(VALU_DEP_2) | instskip(NEXT) | instid1(VALU_DEP_4)
	v_add_co_ci_u32_e32 v30, vcc_lo, v25, v21, vcc_lo
	v_add_co_ci_u32_e32 v29, vcc_lo, 0, v29, vcc_lo
	s_delay_alu instid0(VALU_DEP_1) | instskip(NEXT) | instid1(VALU_DEP_1)
	v_add_nc_u64_e32 v[20:21], v[30:31], v[28:29]
	v_mul_u64_e32 v[24:25], s[42:43], v[20:21]
	s_delay_alu instid0(VALU_DEP_1) | instskip(NEXT) | instid1(VALU_DEP_2)
	v_sub_nc_u32_e32 v1, v26, v25
	v_sub_co_u32 v7, vcc_lo, v22, v24
	s_delay_alu instid0(VALU_DEP_1) | instskip(NEXT) | instid1(VALU_DEP_3)
	v_sub_co_ci_u32_e64 v19, null, v26, v25, vcc_lo
	v_subrev_co_ci_u32_e64 v1, null, s43, v1, vcc_lo
	s_delay_alu instid0(VALU_DEP_3) | instskip(SKIP_1) | instid1(VALU_DEP_3)
	v_sub_co_u32 v15, s3, v7, s42
	v_add_nc_u64_e32 v[24:25], 1, v[20:21]
	v_subrev_co_ci_u32_e64 v1, null, 0, v1, s3
	s_delay_alu instid0(VALU_DEP_3) | instskip(SKIP_1) | instid1(VALU_DEP_3)
	v_cmp_le_u32_e32 vcc_lo, s42, v15
	v_cndmask_b32_e64 v15, 0, -1, vcc_lo
	v_cmp_le_u32_e32 vcc_lo, s43, v1
	v_cndmask_b32_e64 v22, 0, -1, vcc_lo
	v_cmp_le_u32_e32 vcc_lo, s42, v7
	v_cndmask_b32_e64 v7, 0, -1, vcc_lo
	v_cmp_le_u32_e32 vcc_lo, s43, v19
	v_cndmask_b32_e64 v26, 0, -1, vcc_lo
	v_cmp_eq_u32_e32 vcc_lo, s43, v1
	v_cndmask_b32_e32 v1, v22, v15, vcc_lo
	v_cmp_eq_u32_e32 vcc_lo, s43, v19
	v_add_nc_u64_e32 v[22:23], 2, v[20:21]
	v_mov_b32_e32 v19, v18
	v_cndmask_b32_e32 v7, v26, v7, vcc_lo
	v_cmp_ne_u32_e32 vcc_lo, 0, v1
	s_delay_alu instid0(VALU_DEP_2) | instskip(SKIP_1) | instid1(VALU_DEP_1)
	v_cmp_ne_u32_e64 s3, 0, v7
	v_dual_cndmask_b32 v1, v25, v23, vcc_lo :: v_dual_cndmask_b32 v7, v24, v22, vcc_lo
	v_dual_cndmask_b32 v1, v21, v1, s3 :: v_dual_cndmask_b32 v7, v20, v7, s3
	s_delay_alu instid0(VALU_DEP_1) | instskip(NEXT) | instid1(VALU_DEP_2)
	v_xor_b32_e32 v21, v1, v18
	v_xor_b32_e32 v20, v7, v18
	s_delay_alu instid0(VALU_DEP_1)
	v_sub_nc_u64_e32 v[18:19], v[20:21], v[18:19]
                                        ; implicit-def: $vgpr20_vgpr21
.LBB11_57:                              ;   in Loop: Header=BB11_54 Depth=4
	s_or_saveexec_b32 s3, s47
	v_cvt_f32_u32_e32 v7, s20
	s_xor_b32 exec_lo, exec_lo, s3
	s_cbranch_execz .LBB11_59
; %bb.58:                               ;   in Loop: Header=BB11_54 Depth=4
	s_delay_alu instid0(VALU_DEP_1) | instskip(SKIP_2) | instid1(TRANS32_DEP_1)
	v_rcp_iflag_f32_e32 v1, v7
	s_sub_co_i32 s14, 0, s20
	v_nop
	v_mul_f32_e32 v1, 0x4f7ffffe, v1
	s_delay_alu instid0(VALU_DEP_1) | instskip(NEXT) | instid1(VALU_DEP_1)
	v_cvt_u32_f32_e32 v1, v1
	v_mul_lo_u32 v15, s14, v1
	s_delay_alu instid0(VALU_DEP_1) | instskip(NEXT) | instid1(VALU_DEP_1)
	v_mul_hi_u32 v15, v1, v15
	v_add_nc_u32_e32 v1, v1, v15
	s_delay_alu instid0(VALU_DEP_1) | instskip(NEXT) | instid1(VALU_DEP_1)
	v_mul_hi_u32 v1, v20, v1
	v_mul_lo_u32 v15, v1, s20
	s_delay_alu instid0(VALU_DEP_1) | instskip(NEXT) | instid1(VALU_DEP_1)
	v_sub_nc_u32_e32 v15, v20, v15
	v_subrev_nc_u32_e32 v19, s20, v15
	v_cmp_le_u32_e32 vcc_lo, s20, v15
	s_delay_alu instid0(VALU_DEP_2) | instskip(NEXT) | instid1(VALU_DEP_1)
	v_dual_cndmask_b32 v15, v15, v19 :: v_dual_add_nc_u32 v18, 1, v1
	v_cndmask_b32_e32 v1, v1, v18, vcc_lo
	s_delay_alu instid0(VALU_DEP_2) | instskip(NEXT) | instid1(VALU_DEP_2)
	v_cmp_le_u32_e32 vcc_lo, s20, v15
	v_add_nc_u32_e32 v18, 1, v1
	s_delay_alu instid0(VALU_DEP_1)
	v_cndmask_b32_e32 v18, v1, v18, vcc_lo
.LBB11_59:                              ;   in Loop: Header=BB11_54 Depth=4
	s_or_b32 exec_lo, exec_lo, s3
	v_or_b32_e32 v1, s21, v17
                                        ; implicit-def: $vgpr20_vgpr21
	s_mov_b32 s3, exec_lo
	s_delay_alu instid0(VALU_DEP_1)
	v_cmpx_ne_u64_e32 0, v[0:1]
	s_xor_b32 s47, exec_lo, s3
	s_cbranch_execz .LBB11_61
; %bb.60:                               ;   in Loop: Header=BB11_54 Depth=4
	s_ashr_i32 s40, s21, 31
	v_dual_mov_b32 v25, v0 :: v_dual_ashrrev_i32 v20, 31, v17
	s_mov_b32 s41, s40
	v_mov_b32_e32 v41, v0
	s_add_nc_u64 s[42:43], s[20:21], s[40:41]
	s_delay_alu instid0(VALU_DEP_2) | instskip(SKIP_1) | instid1(SALU_CYCLE_1)
	v_mov_b32_e32 v21, v20
	s_xor_b64 s[42:43], s[42:43], s[40:41]
	s_cvt_f32_u32 s3, s42
	s_cvt_f32_u32 s14, s43
	s_sub_nc_u64 s[56:57], 0, s[42:43]
	v_add_nc_u64_e32 v[22:23], v[16:17], v[20:21]
	v_mov_b32_e32 v29, v0
	s_fmamk_f32 s3, s14, 0x4f800000, s3
	s_delay_alu instid0(SALU_CYCLE_3) | instskip(NEXT) | instid1(VALU_DEP_2)
	v_s_rcp_f32 s3, s3
	v_xor_b32_e32 v24, v22, v20
	s_delay_alu instid0(VALU_DEP_3) | instskip(SKIP_1) | instid1(TRANS32_DEP_1)
	v_xor_b32_e32 v28, v23, v20
	v_xor_b32_e32 v20, s40, v20
	s_mul_f32 s3, s3, 0x5f7ffffc
	s_delay_alu instid0(SALU_CYCLE_3) | instskip(NEXT) | instid1(SALU_CYCLE_3)
	s_mul_f32 s14, s3, 0x2f800000
	s_trunc_f32 s14, s14
	s_delay_alu instid0(SALU_CYCLE_3) | instskip(SKIP_1) | instid1(SALU_CYCLE_2)
	s_fmamk_f32 s3, s14, 0xcf800000, s3
	s_cvt_u32_f32 s49, s14
	s_cvt_u32_f32 s48, s3
	s_delay_alu instid0(SALU_CYCLE_3) | instskip(NEXT) | instid1(SALU_CYCLE_1)
	s_mul_u64 s[58:59], s[56:57], s[48:49]
	s_mul_hi_u32 s61, s48, s59
	s_mul_i32 s60, s48, s59
	s_mul_hi_u32 s14, s48, s58
	s_mul_i32 s41, s49, s58
	s_add_nc_u64 s[60:61], s[14:15], s[60:61]
	s_mul_hi_u32 s3, s49, s58
	s_mul_hi_u32 s62, s49, s59
	s_add_co_u32 s14, s60, s41
	s_add_co_ci_u32 s14, s61, s3
	s_mul_i32 s58, s49, s59
	s_add_co_ci_u32 s59, s62, 0
	s_delay_alu instid0(SALU_CYCLE_1) | instskip(NEXT) | instid1(SALU_CYCLE_1)
	s_add_nc_u64 s[58:59], s[14:15], s[58:59]
	s_add_co_u32 s48, s48, s58
	s_cselect_b32 s3, -1, 0
	s_delay_alu instid0(SALU_CYCLE_1) | instskip(SKIP_1) | instid1(SALU_CYCLE_1)
	s_cmp_lg_u32 s3, 0
	s_add_co_ci_u32 s49, s49, s59
	s_mul_u64 s[56:57], s[56:57], s[48:49]
	s_delay_alu instid0(SALU_CYCLE_1)
	s_mul_hi_u32 s59, s48, s57
	s_mul_i32 s58, s48, s57
	s_mul_hi_u32 s14, s48, s56
	s_mul_i32 s41, s49, s56
	s_add_nc_u64 s[58:59], s[14:15], s[58:59]
	s_mul_hi_u32 s3, s49, s56
	s_mul_hi_u32 s60, s49, s57
	s_add_co_u32 s14, s58, s41
	s_add_co_ci_u32 s14, s59, s3
	s_mul_i32 s56, s49, s57
	s_add_co_ci_u32 s57, s60, 0
	s_delay_alu instid0(SALU_CYCLE_1) | instskip(NEXT) | instid1(SALU_CYCLE_1)
	s_add_nc_u64 s[56:57], s[14:15], s[56:57]
	s_add_co_u32 s48, s48, s56
	s_cselect_b32 s3, -1, 0
	v_mul_hi_u32 v40, v24, s48
	s_cmp_lg_u32 s3, 0
	s_add_co_ci_u32 s14, s49, s57
	s_and_b64 s[56:57], s[48:49], s[24:25]
	v_mul_u64_e32 v[26:27], s[14:15], v[24:25]
	v_mul_u64_e32 v[22:23], s[56:57], v[28:29]
	;; [unrolled: 1-line block ×3, first 2 shown]
	s_delay_alu instid0(VALU_DEP_3) | instskip(NEXT) | instid1(VALU_DEP_1)
	v_add_nc_u64_e32 v[26:27], v[40:41], v[26:27]
	v_add_co_u32 v1, vcc_lo, v26, v22
	s_delay_alu instid0(VALU_DEP_2) | instskip(NEXT) | instid1(VALU_DEP_4)
	v_add_co_ci_u32_e32 v40, vcc_lo, v27, v23, vcc_lo
	v_add_co_ci_u32_e32 v31, vcc_lo, 0, v31, vcc_lo
	s_delay_alu instid0(VALU_DEP_1) | instskip(NEXT) | instid1(VALU_DEP_1)
	v_add_nc_u64_e32 v[22:23], v[40:41], v[30:31]
	v_mul_u64_e32 v[26:27], s[42:43], v[22:23]
	s_delay_alu instid0(VALU_DEP_1) | instskip(NEXT) | instid1(VALU_DEP_2)
	v_sub_nc_u32_e32 v1, v28, v27
	v_sub_co_u32 v15, vcc_lo, v24, v26
	s_delay_alu instid0(VALU_DEP_1) | instskip(NEXT) | instid1(VALU_DEP_3)
	v_sub_co_ci_u32_e64 v21, null, v28, v27, vcc_lo
	v_subrev_co_ci_u32_e64 v1, null, s43, v1, vcc_lo
	s_delay_alu instid0(VALU_DEP_3) | instskip(SKIP_1) | instid1(VALU_DEP_3)
	v_sub_co_u32 v19, s3, v15, s42
	v_add_nc_u64_e32 v[26:27], 1, v[22:23]
	v_subrev_co_ci_u32_e64 v1, null, 0, v1, s3
	s_delay_alu instid0(VALU_DEP_3) | instskip(SKIP_1) | instid1(VALU_DEP_3)
	v_cmp_le_u32_e32 vcc_lo, s42, v19
	v_cndmask_b32_e64 v19, 0, -1, vcc_lo
	v_cmp_le_u32_e32 vcc_lo, s43, v1
	v_cndmask_b32_e64 v24, 0, -1, vcc_lo
	v_cmp_le_u32_e32 vcc_lo, s42, v15
	v_cndmask_b32_e64 v15, 0, -1, vcc_lo
	v_cmp_le_u32_e32 vcc_lo, s43, v21
	v_cndmask_b32_e64 v28, 0, -1, vcc_lo
	v_cmp_eq_u32_e32 vcc_lo, s43, v1
	v_cndmask_b32_e32 v1, v24, v19, vcc_lo
	v_cmp_eq_u32_e32 vcc_lo, s43, v21
	v_add_nc_u64_e32 v[24:25], 2, v[22:23]
	v_mov_b32_e32 v21, v20
	v_cndmask_b32_e32 v15, v28, v15, vcc_lo
	v_cmp_ne_u32_e32 vcc_lo, 0, v1
	s_delay_alu instid0(VALU_DEP_2) | instskip(SKIP_1) | instid1(VALU_DEP_1)
	v_cmp_ne_u32_e64 s3, 0, v15
	v_dual_cndmask_b32 v1, v27, v25, vcc_lo :: v_dual_cndmask_b32 v15, v26, v24, vcc_lo
	v_dual_cndmask_b32 v1, v23, v1, s3 :: v_dual_cndmask_b32 v15, v22, v15, s3
	s_delay_alu instid0(VALU_DEP_1) | instskip(NEXT) | instid1(VALU_DEP_2)
	v_xor_b32_e32 v23, v1, v20
	v_xor_b32_e32 v22, v15, v20
	s_delay_alu instid0(VALU_DEP_1)
	v_sub_nc_u64_e32 v[20:21], v[22:23], v[20:21]
.LBB11_61:                              ;   in Loop: Header=BB11_54 Depth=4
	s_and_not1_saveexec_b32 s3, s47
	s_cbranch_execz .LBB11_63
; %bb.62:                               ;   in Loop: Header=BB11_54 Depth=4
	v_rcp_iflag_f32_e32 v1, v7
	s_sub_co_i32 s14, 0, s20
	v_mov_b32_e32 v21, v0
	s_delay_alu instid0(TRANS32_DEP_1) | instskip(NEXT) | instid1(VALU_DEP_1)
	v_mul_f32_e32 v1, 0x4f7ffffe, v1
	v_cvt_u32_f32_e32 v1, v1
	s_delay_alu instid0(VALU_DEP_1) | instskip(NEXT) | instid1(VALU_DEP_1)
	v_mul_lo_u32 v15, s14, v1
	v_mul_hi_u32 v15, v1, v15
	s_delay_alu instid0(VALU_DEP_1) | instskip(NEXT) | instid1(VALU_DEP_1)
	v_add_nc_u32_e32 v1, v1, v15
	v_mul_hi_u32 v1, v16, v1
	s_delay_alu instid0(VALU_DEP_1) | instskip(NEXT) | instid1(VALU_DEP_1)
	v_mul_lo_u32 v15, v1, s20
	v_sub_nc_u32_e32 v15, v16, v15
	s_delay_alu instid0(VALU_DEP_1) | instskip(SKIP_1) | instid1(VALU_DEP_2)
	v_subrev_nc_u32_e32 v20, s20, v15
	v_cmp_le_u32_e32 vcc_lo, s20, v15
	v_dual_add_nc_u32 v19, 1, v1 :: v_dual_cndmask_b32 v15, v15, v20, vcc_lo
	s_delay_alu instid0(VALU_DEP_1) | instskip(NEXT) | instid1(VALU_DEP_2)
	v_cndmask_b32_e32 v1, v1, v19, vcc_lo
	v_cmp_le_u32_e32 vcc_lo, s20, v15
	s_delay_alu instid0(VALU_DEP_2) | instskip(NEXT) | instid1(VALU_DEP_1)
	v_add_nc_u32_e32 v19, 1, v1
	v_cndmask_b32_e32 v20, v1, v19, vcc_lo
.LBB11_63:                              ;   in Loop: Header=BB11_54 Depth=4
	s_or_b32 exec_lo, exec_lo, s3
	s_delay_alu instid0(VALU_DEP_1) | instskip(SKIP_1) | instid1(VALU_DEP_1)
	v_mul_u64_e32 v[22:23], s[20:21], v[20:21]
                                        ; implicit-def: $vgpr24_vgpr25
	s_mov_b32 s3, exec_lo
	v_sub_nc_u64_e32 v[22:23], v[16:17], v[22:23]
	s_delay_alu instid0(VALU_DEP_1) | instskip(NEXT) | instid1(VALU_DEP_1)
	v_mul_u64_e32 v[22:23], s[16:17], v[22:23]
	v_or_b32_e32 v1, s21, v23
	s_delay_alu instid0(VALU_DEP_1)
	v_cmpx_ne_u64_e32 0, v[0:1]
	s_xor_b32 s47, exec_lo, s3
	s_cbranch_execz .LBB11_65
; %bb.64:                               ;   in Loop: Header=BB11_54 Depth=4
	s_ashr_i32 s40, s21, 31
	v_dual_mov_b32 v27, v0 :: v_dual_ashrrev_i32 v24, 31, v23
	s_mov_b32 s41, s40
	s_delay_alu instid0(SALU_CYCLE_1) | instskip(NEXT) | instid1(VALU_DEP_1)
	s_add_nc_u64 s[42:43], s[20:21], s[40:41]
	v_mov_b32_e32 v25, v24
	s_xor_b64 s[42:43], s[42:43], s[40:41]
	s_delay_alu instid0(SALU_CYCLE_1)
	s_cvt_f32_u32 s3, s42
	s_cvt_f32_u32 s14, s43
	s_sub_nc_u64 s[56:57], 0, s[42:43]
	v_add_nc_u64_e32 v[22:23], v[22:23], v[24:25]
	v_mov_b32_e32 v31, v0
	s_fmamk_f32 s3, s14, 0x4f800000, s3
	s_delay_alu instid0(SALU_CYCLE_3) | instskip(NEXT) | instid1(VALU_DEP_2)
	v_s_rcp_f32 s3, s3
	v_xor_b32_e32 v26, v22, v24
	s_delay_alu instid0(VALU_DEP_3) | instskip(SKIP_1) | instid1(TRANS32_DEP_1)
	v_dual_mov_b32 v43, v0 :: v_dual_bitop2_b32 v30, v23, v24 bitop3:0x14
	v_xor_b32_e32 v24, s40, v24
	s_mul_f32 s3, s3, 0x5f7ffffc
	s_delay_alu instid0(VALU_DEP_1) | instskip(NEXT) | instid1(SALU_CYCLE_2)
	v_mov_b32_e32 v25, v24
	s_mul_f32 s14, s3, 0x2f800000
	s_delay_alu instid0(SALU_CYCLE_3) | instskip(NEXT) | instid1(SALU_CYCLE_3)
	s_trunc_f32 s14, s14
	s_fmamk_f32 s3, s14, 0xcf800000, s3
	s_cvt_u32_f32 s49, s14
	s_delay_alu instid0(SALU_CYCLE_2) | instskip(NEXT) | instid1(SALU_CYCLE_3)
	s_cvt_u32_f32 s48, s3
	s_mul_u64 s[58:59], s[56:57], s[48:49]
	s_delay_alu instid0(SALU_CYCLE_1)
	s_mul_hi_u32 s61, s48, s59
	s_mul_i32 s60, s48, s59
	s_mul_hi_u32 s14, s48, s58
	s_mul_i32 s41, s49, s58
	s_add_nc_u64 s[60:61], s[14:15], s[60:61]
	s_mul_hi_u32 s3, s49, s58
	s_mul_hi_u32 s62, s49, s59
	s_add_co_u32 s14, s60, s41
	s_add_co_ci_u32 s14, s61, s3
	s_mul_i32 s58, s49, s59
	s_add_co_ci_u32 s59, s62, 0
	s_delay_alu instid0(SALU_CYCLE_1) | instskip(NEXT) | instid1(SALU_CYCLE_1)
	s_add_nc_u64 s[58:59], s[14:15], s[58:59]
	s_add_co_u32 s48, s48, s58
	s_cselect_b32 s3, -1, 0
	s_delay_alu instid0(SALU_CYCLE_1) | instskip(SKIP_1) | instid1(SALU_CYCLE_1)
	s_cmp_lg_u32 s3, 0
	s_add_co_ci_u32 s49, s49, s59
	s_mul_u64 s[56:57], s[56:57], s[48:49]
	s_delay_alu instid0(SALU_CYCLE_1)
	s_mul_hi_u32 s59, s48, s57
	s_mul_i32 s58, s48, s57
	s_mul_hi_u32 s14, s48, s56
	s_mul_i32 s41, s49, s56
	s_add_nc_u64 s[58:59], s[14:15], s[58:59]
	s_mul_hi_u32 s3, s49, s56
	s_mul_hi_u32 s60, s49, s57
	s_add_co_u32 s14, s58, s41
	s_add_co_ci_u32 s14, s59, s3
	s_mul_i32 s56, s49, s57
	s_add_co_ci_u32 s57, s60, 0
	s_delay_alu instid0(SALU_CYCLE_1) | instskip(NEXT) | instid1(SALU_CYCLE_1)
	s_add_nc_u64 s[56:57], s[14:15], s[56:57]
	s_add_co_u32 s48, s48, s56
	s_cselect_b32 s3, -1, 0
	v_mul_hi_u32 v42, v26, s48
	s_cmp_lg_u32 s3, 0
	s_add_co_ci_u32 s14, s49, s57
	s_and_b64 s[56:57], s[48:49], s[24:25]
	v_mul_u64_e32 v[28:29], s[14:15], v[26:27]
	v_mul_u64_e32 v[22:23], s[56:57], v[30:31]
	;; [unrolled: 1-line block ×3, first 2 shown]
	s_delay_alu instid0(VALU_DEP_3) | instskip(NEXT) | instid1(VALU_DEP_1)
	v_add_nc_u64_e32 v[28:29], v[42:43], v[28:29]
	v_add_co_u32 v1, vcc_lo, v28, v22
	s_delay_alu instid0(VALU_DEP_2) | instskip(NEXT) | instid1(VALU_DEP_4)
	v_add_co_ci_u32_e32 v42, vcc_lo, v29, v23, vcc_lo
	v_add_co_ci_u32_e32 v41, vcc_lo, 0, v41, vcc_lo
	s_delay_alu instid0(VALU_DEP_1) | instskip(NEXT) | instid1(VALU_DEP_1)
	v_add_nc_u64_e32 v[22:23], v[42:43], v[40:41]
	v_mul_u64_e32 v[28:29], s[42:43], v[22:23]
	s_delay_alu instid0(VALU_DEP_1) | instskip(NEXT) | instid1(VALU_DEP_2)
	v_sub_nc_u32_e32 v1, v30, v29
	v_sub_co_u32 v7, vcc_lo, v26, v28
	s_delay_alu instid0(VALU_DEP_1) | instskip(NEXT) | instid1(VALU_DEP_3)
	v_sub_co_ci_u32_e64 v17, null, v30, v29, vcc_lo
	v_subrev_co_ci_u32_e64 v1, null, s43, v1, vcc_lo
	s_delay_alu instid0(VALU_DEP_3) | instskip(SKIP_1) | instid1(VALU_DEP_3)
	v_sub_co_u32 v15, s3, v7, s42
	v_add_nc_u64_e32 v[26:27], 2, v[22:23]
	v_subrev_co_ci_u32_e64 v1, null, 0, v1, s3
	s_delay_alu instid0(VALU_DEP_3) | instskip(SKIP_2) | instid1(VALU_DEP_4)
	v_cmp_le_u32_e32 vcc_lo, s42, v15
	v_add_nc_u64_e32 v[28:29], 1, v[22:23]
	v_cndmask_b32_e64 v15, 0, -1, vcc_lo
	v_cmp_le_u32_e32 vcc_lo, s43, v1
	v_cndmask_b32_e64 v19, 0, -1, vcc_lo
	v_cmp_le_u32_e32 vcc_lo, s42, v7
	;; [unrolled: 2-line block ×3, first 2 shown]
	v_cndmask_b32_e64 v21, 0, -1, vcc_lo
	v_cmp_eq_u32_e32 vcc_lo, s43, v1
	v_cndmask_b32_e32 v1, v19, v15, vcc_lo
	v_cmp_eq_u32_e32 vcc_lo, s43, v17
	s_delay_alu instid0(VALU_DEP_4) | instskip(NEXT) | instid1(VALU_DEP_3)
	v_cndmask_b32_e32 v7, v21, v7, vcc_lo
	v_cmp_ne_u32_e32 vcc_lo, 0, v1
	s_delay_alu instid0(VALU_DEP_2) | instskip(SKIP_1) | instid1(VALU_DEP_1)
	v_cmp_ne_u32_e64 s3, 0, v7
	v_dual_cndmask_b32 v1, v29, v27, vcc_lo :: v_dual_cndmask_b32 v7, v28, v26, vcc_lo
	v_dual_cndmask_b32 v1, v23, v1, s3 :: v_dual_cndmask_b32 v7, v22, v7, s3
	s_delay_alu instid0(VALU_DEP_1) | instskip(NEXT) | instid1(VALU_DEP_2)
	v_xor_b32_e32 v23, v1, v24
	v_xor_b32_e32 v22, v7, v24
                                        ; implicit-def: $vgpr7
	s_delay_alu instid0(VALU_DEP_1)
	v_sub_nc_u64_e32 v[24:25], v[22:23], v[24:25]
                                        ; implicit-def: $vgpr22_vgpr23
.LBB11_65:                              ;   in Loop: Header=BB11_54 Depth=4
	s_and_not1_saveexec_b32 s3, s47
	s_cbranch_execz .LBB11_67
; %bb.66:                               ;   in Loop: Header=BB11_54 Depth=4
	v_rcp_iflag_f32_e32 v1, v7
	s_sub_co_i32 s14, 0, s20
	v_nop
	s_delay_alu instid0(TRANS32_DEP_1) | instskip(NEXT) | instid1(VALU_DEP_1)
	v_mul_f32_e32 v1, 0x4f7ffffe, v1
	v_cvt_u32_f32_e32 v1, v1
	s_delay_alu instid0(VALU_DEP_1) | instskip(NEXT) | instid1(VALU_DEP_1)
	v_mul_lo_u32 v7, s14, v1
	v_mul_hi_u32 v7, v1, v7
	s_delay_alu instid0(VALU_DEP_1) | instskip(NEXT) | instid1(VALU_DEP_1)
	v_add_nc_u32_e32 v1, v1, v7
	v_mul_hi_u32 v1, v22, v1
	s_delay_alu instid0(VALU_DEP_1) | instskip(NEXT) | instid1(VALU_DEP_1)
	v_mul_lo_u32 v7, v1, s20
	v_dual_add_nc_u32 v15, 1, v1 :: v_dual_sub_nc_u32 v7, v22, v7
	s_delay_alu instid0(VALU_DEP_1) | instskip(SKIP_1) | instid1(VALU_DEP_2)
	v_subrev_nc_u32_e32 v17, s20, v7
	v_cmp_le_u32_e32 vcc_lo, s20, v7
	v_dual_cndmask_b32 v7, v7, v17, vcc_lo :: v_dual_cndmask_b32 v1, v1, v15, vcc_lo
	s_delay_alu instid0(VALU_DEP_1) | instskip(NEXT) | instid1(VALU_DEP_2)
	v_cmp_le_u32_e32 vcc_lo, s20, v7
	v_add_nc_u32_e32 v15, 1, v1
	s_delay_alu instid0(VALU_DEP_1)
	v_cndmask_b32_e32 v24, v1, v15, vcc_lo
.LBB11_67:                              ;   in Loop: Header=BB11_54 Depth=4
	s_or_b32 exec_lo, exec_lo, s3
	global_load_u16 v17, v[12:13], off
	v_mad_u32 v1, v20, s16, v24
	v_mov_b64_e32 v[20:21], v[10:11]
	v_mov_b64_e32 v[22:23], v[8:9]
	s_mov_b32 s47, 0
	s_delay_alu instid0(VALU_DEP_3) | instskip(NEXT) | instid1(VALU_DEP_1)
	v_dual_ashrrev_i32 v15, 31, v14 :: v_dual_sub_nc_u32 v1, v18, v1
	v_lshl_add_u64 v[18:19], v[14:15], 1, s[36:37]
	s_delay_alu instid0(VALU_DEP_2)
	v_mad_u32 v7, s44, v1, s44
	s_branch .LBB11_69
.LBB11_68:                              ;   in Loop: Header=BB11_69 Depth=5
	s_or_b32 exec_lo, exec_lo, s3
	global_load_u16 v1, v[18:19], off
	v_mad_u32 v15, v26, s18, v30
	v_add_nc_u64_e32 v[22:23], 1, v[22:23]
	s_wait_xcnt 0x0
	v_add_nc_u64_e32 v[18:19], 2, v[18:19]
	v_add_nc_u64_e32 v[20:21], s[18:19], v[20:21]
	s_wait_loadcnt 0x1
	s_delay_alu instid0(VALU_DEP_4) | instskip(SKIP_2) | instid1(VALU_DEP_2)
	v_dual_lshlrev_b32 v17, 16, v17 :: v_dual_sub_nc_u32 v15, v24, v15
	s_wait_loadcnt 0x0
	v_lshlrev_b32_e32 v1, 16, v1
	v_mad_u32 v15, v7, v15, v7
	s_delay_alu instid0(VALU_DEP_1) | instskip(NEXT) | instid1(VALU_DEP_1)
	v_cvt_f32_i32_e32 v15, v15
	v_div_scale_f32 v24, null, v15, v15, v1
	s_delay_alu instid0(VALU_DEP_1) | instskip(SKIP_1) | instid1(TRANS32_DEP_1)
	v_rcp_f32_e32 v25, v24
	v_nop
	v_fma_f32 v26, -v24, v25, 1.0
	s_delay_alu instid0(VALU_DEP_1) | instskip(SKIP_1) | instid1(VALU_DEP_1)
	v_fmac_f32_e32 v25, v26, v25
	v_div_scale_f32 v26, vcc_lo, v1, v15, v1
	v_mul_f32_e32 v27, v26, v25
	s_delay_alu instid0(VALU_DEP_1) | instskip(NEXT) | instid1(VALU_DEP_1)
	v_fma_f32 v28, -v24, v27, v26
	v_fmac_f32_e32 v27, v28, v25
	s_delay_alu instid0(VALU_DEP_1) | instskip(NEXT) | instid1(VALU_DEP_1)
	v_fma_f32 v24, -v24, v27, v26
	v_div_fmas_f32 v24, v24, v25, v27
	s_delay_alu instid0(VALU_DEP_1) | instskip(NEXT) | instid1(VALU_DEP_1)
	v_div_fixup_f32 v1, v24, v15, v1
	v_bfe_u32 v15, v1, 16, 1
	v_cmp_o_f32_e32 vcc_lo, v1, v1
	s_delay_alu instid0(VALU_DEP_2) | instskip(NEXT) | instid1(VALU_DEP_1)
	v_add3_u32 v15, v1, v15, 0x7fff
	v_and_b32_e32 v15, 0xffff0000, v15
	s_delay_alu instid0(VALU_DEP_1) | instskip(SKIP_1) | instid1(VALU_DEP_2)
	v_cndmask_b32_e32 v1, 0x7fc00000, v15, vcc_lo
	v_cmp_ge_i32_e32 vcc_lo, v22, v38
	v_add_f32_e32 v1, v1, v17
	s_or_b32 s47, vcc_lo, s47
	s_delay_alu instid0(VALU_DEP_1) | instskip(SKIP_1) | instid1(VALU_DEP_2)
	v_bfe_u32 v15, v1, 16, 1
	v_cmp_o_f32_e64 s3, v1, v1
	v_add3_u32 v15, v1, v15, 0x7fff
	s_delay_alu instid0(VALU_DEP_1) | instskip(NEXT) | instid1(VALU_DEP_1)
	v_lshrrev_b32_e32 v15, 16, v15
	v_cndmask_b32_e64 v17, 0x7fc0, v15, s3
	global_store_b16 v[12:13], v17, off
	s_wait_xcnt 0x0
	s_and_not1_b32 exec_lo, exec_lo, s47
	s_cbranch_execz .LBB11_53
.LBB11_69:                              ;   Parent Loop BB11_12 Depth=1
                                        ;     Parent Loop BB11_27 Depth=2
                                        ;       Parent Loop BB11_42 Depth=3
                                        ;         Parent Loop BB11_54 Depth=4
                                        ; =>        This Inner Loop Header: Depth=5
	v_or_b32_e32 v1, s23, v21
                                        ; implicit-def: $vgpr24_vgpr25
	s_mov_b32 s3, exec_lo
	s_wait_xcnt 0x0
	s_delay_alu instid0(VALU_DEP_1)
	v_cmpx_ne_u64_e32 0, v[0:1]
	s_xor_b32 s48, exec_lo, s3
	s_cbranch_execz .LBB11_71
; %bb.70:                               ;   in Loop: Header=BB11_69 Depth=5
	s_ashr_i32 s40, s23, 31
	v_dual_mov_b32 v29, v0 :: v_dual_ashrrev_i32 v24, 31, v21
	s_mov_b32 s41, s40
	v_mov_b32_e32 v45, v0
	s_add_nc_u64 s[42:43], s[22:23], s[40:41]
	s_delay_alu instid0(VALU_DEP_2) | instskip(SKIP_1) | instid1(SALU_CYCLE_1)
	v_mov_b32_e32 v25, v24
	s_xor_b64 s[42:43], s[42:43], s[40:41]
	s_cvt_f32_u32 s3, s42
	s_cvt_f32_u32 s14, s43
	s_sub_nc_u64 s[58:59], 0, s[42:43]
	v_add_nc_u64_e32 v[26:27], v[20:21], v[24:25]
	v_mov_b32_e32 v41, v0
	s_fmamk_f32 s3, s14, 0x4f800000, s3
	s_delay_alu instid0(SALU_CYCLE_3) | instskip(NEXT) | instid1(VALU_DEP_2)
	v_s_rcp_f32 s3, s3
	v_xor_b32_e32 v28, v26, v24
	s_delay_alu instid0(VALU_DEP_3) | instskip(SKIP_1) | instid1(TRANS32_DEP_1)
	v_xor_b32_e32 v40, v27, v24
	v_xor_b32_e32 v24, s40, v24
	s_mul_f32 s3, s3, 0x5f7ffffc
	s_delay_alu instid0(SALU_CYCLE_3) | instskip(NEXT) | instid1(SALU_CYCLE_3)
	s_mul_f32 s14, s3, 0x2f800000
	s_trunc_f32 s14, s14
	s_delay_alu instid0(SALU_CYCLE_3) | instskip(SKIP_1) | instid1(SALU_CYCLE_2)
	s_fmamk_f32 s3, s14, 0xcf800000, s3
	s_cvt_u32_f32 s57, s14
	s_cvt_u32_f32 s56, s3
	s_delay_alu instid0(SALU_CYCLE_3) | instskip(NEXT) | instid1(SALU_CYCLE_1)
	s_mul_u64 s[60:61], s[58:59], s[56:57]
	s_mul_hi_u32 s63, s56, s61
	s_mul_i32 s62, s56, s61
	s_mul_hi_u32 s14, s56, s60
	s_mul_i32 s41, s57, s60
	s_add_nc_u64 s[62:63], s[14:15], s[62:63]
	s_mul_hi_u32 s3, s57, s60
	s_mul_hi_u32 s49, s57, s61
	s_add_co_u32 s14, s62, s41
	s_add_co_ci_u32 s14, s63, s3
	s_mul_i32 s60, s57, s61
	s_add_co_ci_u32 s61, s49, 0
	s_delay_alu instid0(SALU_CYCLE_1) | instskip(NEXT) | instid1(SALU_CYCLE_1)
	s_add_nc_u64 s[60:61], s[14:15], s[60:61]
	s_add_co_u32 s56, s56, s60
	s_cselect_b32 s3, -1, 0
	s_delay_alu instid0(SALU_CYCLE_1) | instskip(SKIP_1) | instid1(SALU_CYCLE_1)
	s_cmp_lg_u32 s3, 0
	s_add_co_ci_u32 s57, s57, s61
	s_mul_u64 s[58:59], s[58:59], s[56:57]
	s_delay_alu instid0(SALU_CYCLE_1)
	s_mul_hi_u32 s61, s56, s59
	s_mul_i32 s60, s56, s59
	s_mul_hi_u32 s14, s56, s58
	s_mul_i32 s41, s57, s58
	s_add_nc_u64 s[60:61], s[14:15], s[60:61]
	s_mul_hi_u32 s3, s57, s58
	s_mul_hi_u32 s49, s57, s59
	s_add_co_u32 s14, s60, s41
	s_add_co_ci_u32 s14, s61, s3
	s_mul_i32 s58, s57, s59
	s_add_co_ci_u32 s59, s49, 0
	s_delay_alu instid0(SALU_CYCLE_1) | instskip(NEXT) | instid1(SALU_CYCLE_1)
	s_add_nc_u64 s[58:59], s[14:15], s[58:59]
	s_add_co_u32 s56, s56, s58
	s_cselect_b32 s3, -1, 0
	v_mul_hi_u32 v44, v28, s56
	s_cmp_lg_u32 s3, 0
	s_add_co_ci_u32 s14, s57, s59
	s_and_b64 s[58:59], s[56:57], s[24:25]
	v_mul_u64_e32 v[30:31], s[14:15], v[28:29]
	v_mul_u64_e32 v[26:27], s[58:59], v[40:41]
	v_mul_u64_e32 v[42:43], s[14:15], v[40:41]
	s_delay_alu instid0(VALU_DEP_3) | instskip(NEXT) | instid1(VALU_DEP_1)
	v_add_nc_u64_e32 v[30:31], v[44:45], v[30:31]
	v_add_co_u32 v1, vcc_lo, v30, v26
	s_delay_alu instid0(VALU_DEP_2) | instskip(NEXT) | instid1(VALU_DEP_4)
	v_add_co_ci_u32_e32 v44, vcc_lo, v31, v27, vcc_lo
	v_add_co_ci_u32_e32 v43, vcc_lo, 0, v43, vcc_lo
	s_delay_alu instid0(VALU_DEP_1) | instskip(NEXT) | instid1(VALU_DEP_1)
	v_add_nc_u64_e32 v[26:27], v[44:45], v[42:43]
	v_mul_u64_e32 v[30:31], s[42:43], v[26:27]
	s_delay_alu instid0(VALU_DEP_1) | instskip(NEXT) | instid1(VALU_DEP_2)
	v_sub_nc_u32_e32 v1, v40, v31
	v_sub_co_u32 v15, vcc_lo, v28, v30
	s_delay_alu instid0(VALU_DEP_1) | instskip(NEXT) | instid1(VALU_DEP_3)
	v_sub_co_ci_u32_e64 v39, null, v40, v31, vcc_lo
	v_subrev_co_ci_u32_e64 v1, null, s43, v1, vcc_lo
	s_delay_alu instid0(VALU_DEP_3) | instskip(SKIP_1) | instid1(VALU_DEP_3)
	v_sub_co_u32 v25, s3, v15, s42
	v_add_nc_u64_e32 v[30:31], 1, v[26:27]
	v_subrev_co_ci_u32_e64 v1, null, 0, v1, s3
	s_delay_alu instid0(VALU_DEP_3) | instskip(SKIP_1) | instid1(VALU_DEP_3)
	v_cmp_le_u32_e32 vcc_lo, s42, v25
	v_cndmask_b32_e64 v25, 0, -1, vcc_lo
	v_cmp_le_u32_e32 vcc_lo, s43, v1
	v_cndmask_b32_e64 v28, 0, -1, vcc_lo
	;; [unrolled: 2-line block ×4, first 2 shown]
	v_cmp_eq_u32_e32 vcc_lo, s43, v1
	v_cndmask_b32_e32 v1, v28, v25, vcc_lo
	v_cmp_eq_u32_e32 vcc_lo, s43, v39
	v_add_nc_u64_e32 v[28:29], 2, v[26:27]
	v_mov_b32_e32 v25, v24
	v_cndmask_b32_e32 v15, v40, v15, vcc_lo
	v_cmp_ne_u32_e32 vcc_lo, 0, v1
	s_delay_alu instid0(VALU_DEP_2) | instskip(SKIP_1) | instid1(VALU_DEP_1)
	v_cmp_ne_u32_e64 s3, 0, v15
	v_dual_cndmask_b32 v1, v31, v29, vcc_lo :: v_dual_cndmask_b32 v15, v30, v28, vcc_lo
	v_dual_cndmask_b32 v1, v27, v1, s3 :: v_dual_cndmask_b32 v15, v26, v15, s3
	s_delay_alu instid0(VALU_DEP_1) | instskip(NEXT) | instid1(VALU_DEP_2)
	v_xor_b32_e32 v27, v1, v24
	v_xor_b32_e32 v26, v15, v24
	s_delay_alu instid0(VALU_DEP_1)
	v_sub_nc_u64_e32 v[24:25], v[26:27], v[24:25]
.LBB11_71:                              ;   in Loop: Header=BB11_69 Depth=5
	s_or_saveexec_b32 s3, s48
	v_cvt_f32_u32_e32 v15, s22
	s_xor_b32 exec_lo, exec_lo, s3
	s_cbranch_execz .LBB11_73
; %bb.72:                               ;   in Loop: Header=BB11_69 Depth=5
	s_delay_alu instid0(VALU_DEP_1) | instskip(SKIP_2) | instid1(TRANS32_DEP_1)
	v_rcp_iflag_f32_e32 v1, v15
	s_sub_co_i32 s14, 0, s22
	v_nop
	v_mul_f32_e32 v1, 0x4f7ffffe, v1
	s_delay_alu instid0(VALU_DEP_1) | instskip(NEXT) | instid1(VALU_DEP_1)
	v_cvt_u32_f32_e32 v1, v1
	v_mul_lo_u32 v24, s14, v1
	s_delay_alu instid0(VALU_DEP_1) | instskip(NEXT) | instid1(VALU_DEP_1)
	v_mul_hi_u32 v24, v1, v24
	v_add_nc_u32_e32 v1, v1, v24
	s_delay_alu instid0(VALU_DEP_1) | instskip(NEXT) | instid1(VALU_DEP_1)
	v_mul_hi_u32 v1, v20, v1
	v_mul_lo_u32 v24, v1, s22
	s_delay_alu instid0(VALU_DEP_1) | instskip(NEXT) | instid1(VALU_DEP_1)
	v_dual_add_nc_u32 v25, 1, v1 :: v_dual_sub_nc_u32 v24, v20, v24
	v_subrev_nc_u32_e32 v26, s22, v24
	v_cmp_le_u32_e32 vcc_lo, s22, v24
	s_delay_alu instid0(VALU_DEP_2) | instskip(NEXT) | instid1(VALU_DEP_1)
	v_dual_cndmask_b32 v24, v24, v26 :: v_dual_cndmask_b32 v1, v1, v25
	v_cmp_le_u32_e32 vcc_lo, s22, v24
	s_delay_alu instid0(VALU_DEP_2) | instskip(NEXT) | instid1(VALU_DEP_1)
	v_add_nc_u32_e32 v25, 1, v1
	v_cndmask_b32_e32 v24, v1, v25, vcc_lo
.LBB11_73:                              ;   in Loop: Header=BB11_69 Depth=5
	s_or_b32 exec_lo, exec_lo, s3
	v_or_b32_e32 v1, s23, v23
                                        ; implicit-def: $vgpr26_vgpr27
	s_mov_b32 s3, exec_lo
	s_delay_alu instid0(VALU_DEP_1)
	v_cmpx_ne_u64_e32 0, v[0:1]
	s_xor_b32 s48, exec_lo, s3
	s_cbranch_execz .LBB11_75
; %bb.74:                               ;   in Loop: Header=BB11_69 Depth=5
	s_ashr_i32 s40, s23, 31
	v_dual_mov_b32 v31, v0 :: v_dual_ashrrev_i32 v26, 31, v23
	s_mov_b32 s41, s40
	s_delay_alu instid0(SALU_CYCLE_1) | instskip(NEXT) | instid1(VALU_DEP_1)
	s_add_nc_u64 s[42:43], s[22:23], s[40:41]
	v_mov_b32_e32 v27, v26
	s_xor_b64 s[42:43], s[42:43], s[40:41]
	s_delay_alu instid0(SALU_CYCLE_1)
	s_cvt_f32_u32 s3, s42
	s_cvt_f32_u32 s14, s43
	s_sub_nc_u64 s[58:59], 0, s[42:43]
	v_add_nc_u64_e32 v[28:29], v[22:23], v[26:27]
	v_mov_b32_e32 v43, v0
	s_fmamk_f32 s3, s14, 0x4f800000, s3
	s_delay_alu instid0(SALU_CYCLE_3) | instskip(NEXT) | instid1(VALU_DEP_2)
	v_s_rcp_f32 s3, s3
	v_xor_b32_e32 v30, v28, v26
	s_delay_alu instid0(VALU_DEP_3) | instskip(NEXT) | instid1(TRANS32_DEP_1)
	v_dual_mov_b32 v47, v0 :: v_dual_bitop2_b32 v42, v29, v26 bitop3:0x14
	s_mul_f32 s3, s3, 0x5f7ffffc
	s_delay_alu instid0(SALU_CYCLE_3) | instskip(NEXT) | instid1(SALU_CYCLE_3)
	s_mul_f32 s14, s3, 0x2f800000
	s_trunc_f32 s14, s14
	s_delay_alu instid0(SALU_CYCLE_3) | instskip(SKIP_1) | instid1(SALU_CYCLE_2)
	s_fmamk_f32 s3, s14, 0xcf800000, s3
	s_cvt_u32_f32 s57, s14
	s_cvt_u32_f32 s56, s3
	s_delay_alu instid0(SALU_CYCLE_3) | instskip(NEXT) | instid1(SALU_CYCLE_1)
	s_mul_u64 s[60:61], s[58:59], s[56:57]
	s_mul_hi_u32 s63, s56, s61
	s_mul_i32 s62, s56, s61
	s_mul_hi_u32 s14, s56, s60
	s_mul_i32 s41, s57, s60
	s_add_nc_u64 s[62:63], s[14:15], s[62:63]
	s_mul_hi_u32 s3, s57, s60
	s_mul_hi_u32 s49, s57, s61
	s_add_co_u32 s14, s62, s41
	s_add_co_ci_u32 s14, s63, s3
	s_mul_i32 s60, s57, s61
	s_add_co_ci_u32 s61, s49, 0
	s_delay_alu instid0(SALU_CYCLE_1) | instskip(NEXT) | instid1(SALU_CYCLE_1)
	s_add_nc_u64 s[60:61], s[14:15], s[60:61]
	s_add_co_u32 s56, s56, s60
	s_cselect_b32 s3, -1, 0
	s_delay_alu instid0(SALU_CYCLE_1) | instskip(SKIP_1) | instid1(SALU_CYCLE_1)
	s_cmp_lg_u32 s3, 0
	s_add_co_ci_u32 s57, s57, s61
	s_mul_u64 s[58:59], s[58:59], s[56:57]
	s_delay_alu instid0(SALU_CYCLE_1)
	s_mul_hi_u32 s61, s56, s59
	s_mul_i32 s60, s56, s59
	s_mul_hi_u32 s14, s56, s58
	s_mul_i32 s41, s57, s58
	s_add_nc_u64 s[60:61], s[14:15], s[60:61]
	s_mul_hi_u32 s3, s57, s58
	s_mul_hi_u32 s49, s57, s59
	s_add_co_u32 s14, s60, s41
	s_add_co_ci_u32 s14, s61, s3
	s_mul_i32 s58, s57, s59
	s_add_co_ci_u32 s59, s49, 0
	s_delay_alu instid0(SALU_CYCLE_1) | instskip(NEXT) | instid1(SALU_CYCLE_1)
	s_add_nc_u64 s[58:59], s[14:15], s[58:59]
	s_add_co_u32 s56, s56, s58
	s_cselect_b32 s3, -1, 0
	v_mul_hi_u32 v46, v30, s56
	s_cmp_lg_u32 s3, 0
	s_add_co_ci_u32 s14, s57, s59
	s_and_b64 s[58:59], s[56:57], s[24:25]
	v_mul_u64_e32 v[40:41], s[14:15], v[30:31]
	v_mul_u64_e32 v[28:29], s[58:59], v[42:43]
	;; [unrolled: 1-line block ×3, first 2 shown]
	s_delay_alu instid0(VALU_DEP_3) | instskip(NEXT) | instid1(VALU_DEP_1)
	v_add_nc_u64_e32 v[40:41], v[46:47], v[40:41]
	v_add_co_u32 v1, vcc_lo, v40, v28
	s_delay_alu instid0(VALU_DEP_2) | instskip(NEXT) | instid1(VALU_DEP_4)
	v_add_co_ci_u32_e32 v46, vcc_lo, v41, v29, vcc_lo
	v_add_co_ci_u32_e32 v45, vcc_lo, 0, v45, vcc_lo
	s_delay_alu instid0(VALU_DEP_1) | instskip(NEXT) | instid1(VALU_DEP_1)
	v_add_nc_u64_e32 v[28:29], v[46:47], v[44:45]
	v_mul_u64_e32 v[40:41], s[42:43], v[28:29]
	s_delay_alu instid0(VALU_DEP_1) | instskip(NEXT) | instid1(VALU_DEP_2)
	v_sub_nc_u32_e32 v1, v42, v41
	v_sub_co_u32 v25, vcc_lo, v30, v40
	s_delay_alu instid0(VALU_DEP_1) | instskip(NEXT) | instid1(VALU_DEP_3)
	v_sub_co_ci_u32_e64 v39, null, v42, v41, vcc_lo
	v_subrev_co_ci_u32_e64 v1, null, s43, v1, vcc_lo
	s_delay_alu instid0(VALU_DEP_3) | instskip(SKIP_1) | instid1(VALU_DEP_3)
	v_sub_co_u32 v27, s3, v25, s42
	v_add_nc_u64_e32 v[40:41], 1, v[28:29]
	v_subrev_co_ci_u32_e64 v1, null, 0, v1, s3
	s_delay_alu instid0(VALU_DEP_3) | instskip(SKIP_1) | instid1(VALU_DEP_3)
	v_cmp_le_u32_e32 vcc_lo, s42, v27
	v_cndmask_b32_e64 v27, 0, -1, vcc_lo
	v_cmp_le_u32_e32 vcc_lo, s43, v1
	v_cndmask_b32_e64 v30, 0, -1, vcc_lo
	;; [unrolled: 2-line block ×4, first 2 shown]
	v_cmp_eq_u32_e32 vcc_lo, s43, v1
	v_cndmask_b32_e32 v1, v30, v27, vcc_lo
	v_cmp_eq_u32_e32 vcc_lo, s43, v39
	v_add_nc_u64_e32 v[30:31], 2, v[28:29]
	v_cndmask_b32_e32 v25, v42, v25, vcc_lo
	s_delay_alu instid0(VALU_DEP_4) | instskip(NEXT) | instid1(VALU_DEP_3)
	v_cmp_ne_u32_e32 vcc_lo, 0, v1
	v_cndmask_b32_e32 v1, v41, v31, vcc_lo
	s_delay_alu instid0(VALU_DEP_3) | instskip(SKIP_1) | instid1(VALU_DEP_2)
	v_cmp_ne_u32_e64 s3, 0, v25
	v_cndmask_b32_e32 v25, v40, v30, vcc_lo
	v_dual_cndmask_b32 v1, v29, v1, s3 :: v_dual_bitop2_b32 v26, s40, v26 bitop3:0x14
	s_delay_alu instid0(VALU_DEP_1) | instskip(NEXT) | instid1(VALU_DEP_2)
	v_dual_cndmask_b32 v25, v28, v25, s3 :: v_dual_mov_b32 v27, v26
	v_xor_b32_e32 v29, v1, v26
	s_delay_alu instid0(VALU_DEP_2) | instskip(NEXT) | instid1(VALU_DEP_1)
	v_xor_b32_e32 v28, v25, v26
	v_sub_nc_u64_e32 v[26:27], v[28:29], v[26:27]
.LBB11_75:                              ;   in Loop: Header=BB11_69 Depth=5
	s_and_not1_saveexec_b32 s3, s48
	s_cbranch_execz .LBB11_77
; %bb.76:                               ;   in Loop: Header=BB11_69 Depth=5
	v_rcp_iflag_f32_e32 v1, v15
	s_sub_co_i32 s14, 0, s22
	v_nop
	s_delay_alu instid0(TRANS32_DEP_1) | instskip(NEXT) | instid1(VALU_DEP_1)
	v_mul_f32_e32 v1, 0x4f7ffffe, v1
	v_cvt_u32_f32_e32 v1, v1
	s_delay_alu instid0(VALU_DEP_1) | instskip(NEXT) | instid1(VALU_DEP_1)
	v_mul_lo_u32 v25, s14, v1
	v_mul_hi_u32 v25, v1, v25
	s_delay_alu instid0(VALU_DEP_1) | instskip(NEXT) | instid1(VALU_DEP_1)
	v_add_nc_u32_e32 v1, v1, v25
	v_mul_hi_u32 v1, v22, v1
	s_delay_alu instid0(VALU_DEP_1) | instskip(NEXT) | instid1(VALU_DEP_1)
	v_mul_lo_u32 v25, v1, s22
	v_sub_nc_u32_e32 v25, v22, v25
	s_delay_alu instid0(VALU_DEP_1) | instskip(SKIP_1) | instid1(VALU_DEP_2)
	v_subrev_nc_u32_e32 v27, s22, v25
	v_cmp_le_u32_e32 vcc_lo, s22, v25
	v_dual_cndmask_b32 v25, v25, v27 :: v_dual_add_nc_u32 v26, 1, v1
	s_delay_alu instid0(VALU_DEP_1) | instskip(NEXT) | instid1(VALU_DEP_2)
	v_dual_cndmask_b32 v1, v1, v26, vcc_lo :: v_dual_mov_b32 v27, v0
	v_cmp_le_u32_e32 vcc_lo, s22, v25
	s_delay_alu instid0(VALU_DEP_2) | instskip(NEXT) | instid1(VALU_DEP_1)
	v_add_nc_u32_e32 v26, 1, v1
	v_cndmask_b32_e32 v26, v1, v26, vcc_lo
.LBB11_77:                              ;   in Loop: Header=BB11_69 Depth=5
	s_or_b32 exec_lo, exec_lo, s3
	s_delay_alu instid0(VALU_DEP_1) | instskip(SKIP_1) | instid1(VALU_DEP_1)
	v_mul_u64_e32 v[28:29], s[22:23], v[26:27]
                                        ; implicit-def: $vgpr30_vgpr31
	s_mov_b32 s3, exec_lo
	v_sub_nc_u64_e32 v[28:29], v[22:23], v[28:29]
	s_delay_alu instid0(VALU_DEP_1) | instskip(NEXT) | instid1(VALU_DEP_1)
	v_mul_u64_e32 v[28:29], s[18:19], v[28:29]
	v_or_b32_e32 v1, s23, v29
	s_delay_alu instid0(VALU_DEP_1)
	v_cmpx_ne_u64_e32 0, v[0:1]
	s_xor_b32 s48, exec_lo, s3
	s_cbranch_execz .LBB11_79
; %bb.78:                               ;   in Loop: Header=BB11_69 Depth=5
	s_ashr_i32 s40, s23, 31
	v_dual_mov_b32 v41, v0 :: v_dual_ashrrev_i32 v30, 31, v29
	s_mov_b32 s41, s40
	v_mov_b32_e32 v49, v0
	s_add_nc_u64 s[42:43], s[22:23], s[40:41]
	s_delay_alu instid0(VALU_DEP_2) | instskip(SKIP_1) | instid1(SALU_CYCLE_1)
	v_mov_b32_e32 v31, v30
	s_xor_b64 s[42:43], s[42:43], s[40:41]
	s_cvt_f32_u32 s3, s42
	s_cvt_f32_u32 s14, s43
	s_sub_nc_u64 s[58:59], 0, s[42:43]
	v_add_nc_u64_e32 v[28:29], v[28:29], v[30:31]
	v_mov_b32_e32 v45, v0
	s_fmamk_f32 s3, s14, 0x4f800000, s3
	s_delay_alu instid0(SALU_CYCLE_3) | instskip(NEXT) | instid1(VALU_DEP_2)
	v_s_rcp_f32 s3, s3
	v_xor_b32_e32 v40, v28, v30
	s_delay_alu instid0(VALU_DEP_3) | instskip(SKIP_1) | instid1(TRANS32_DEP_1)
	v_xor_b32_e32 v44, v29, v30
	v_xor_b32_e32 v30, s40, v30
	s_mul_f32 s3, s3, 0x5f7ffffc
	s_delay_alu instid0(SALU_CYCLE_3) | instskip(NEXT) | instid1(SALU_CYCLE_3)
	s_mul_f32 s14, s3, 0x2f800000
	s_trunc_f32 s14, s14
	s_delay_alu instid0(SALU_CYCLE_3) | instskip(SKIP_1) | instid1(SALU_CYCLE_2)
	s_fmamk_f32 s3, s14, 0xcf800000, s3
	s_cvt_u32_f32 s57, s14
	s_cvt_u32_f32 s56, s3
	s_delay_alu instid0(SALU_CYCLE_3) | instskip(NEXT) | instid1(SALU_CYCLE_1)
	s_mul_u64 s[60:61], s[58:59], s[56:57]
	s_mul_hi_u32 s63, s56, s61
	s_mul_i32 s62, s56, s61
	s_mul_hi_u32 s14, s56, s60
	s_mul_i32 s41, s57, s60
	s_add_nc_u64 s[62:63], s[14:15], s[62:63]
	s_mul_hi_u32 s3, s57, s60
	s_mul_hi_u32 s49, s57, s61
	s_add_co_u32 s14, s62, s41
	s_add_co_ci_u32 s14, s63, s3
	s_mul_i32 s60, s57, s61
	s_add_co_ci_u32 s61, s49, 0
	s_delay_alu instid0(SALU_CYCLE_1) | instskip(NEXT) | instid1(SALU_CYCLE_1)
	s_add_nc_u64 s[60:61], s[14:15], s[60:61]
	s_add_co_u32 s56, s56, s60
	s_cselect_b32 s3, -1, 0
	s_delay_alu instid0(SALU_CYCLE_1) | instskip(SKIP_1) | instid1(SALU_CYCLE_1)
	s_cmp_lg_u32 s3, 0
	s_add_co_ci_u32 s57, s57, s61
	s_mul_u64 s[58:59], s[58:59], s[56:57]
	s_delay_alu instid0(SALU_CYCLE_1)
	s_mul_hi_u32 s61, s56, s59
	s_mul_i32 s60, s56, s59
	s_mul_hi_u32 s14, s56, s58
	s_mul_i32 s41, s57, s58
	s_add_nc_u64 s[60:61], s[14:15], s[60:61]
	s_mul_hi_u32 s3, s57, s58
	s_mul_hi_u32 s49, s57, s59
	s_add_co_u32 s14, s60, s41
	s_add_co_ci_u32 s14, s61, s3
	s_mul_i32 s58, s57, s59
	s_add_co_ci_u32 s59, s49, 0
	s_delay_alu instid0(SALU_CYCLE_1) | instskip(NEXT) | instid1(SALU_CYCLE_1)
	s_add_nc_u64 s[58:59], s[14:15], s[58:59]
	s_add_co_u32 s56, s56, s58
	s_cselect_b32 s3, -1, 0
	v_mul_hi_u32 v48, v40, s56
	s_cmp_lg_u32 s3, 0
	s_add_co_ci_u32 s14, s57, s59
	s_and_b64 s[58:59], s[56:57], s[24:25]
	v_mul_u64_e32 v[42:43], s[14:15], v[40:41]
	v_mul_u64_e32 v[28:29], s[58:59], v[44:45]
	;; [unrolled: 1-line block ×3, first 2 shown]
	s_delay_alu instid0(VALU_DEP_3) | instskip(NEXT) | instid1(VALU_DEP_1)
	v_add_nc_u64_e32 v[42:43], v[48:49], v[42:43]
	v_add_co_u32 v1, vcc_lo, v42, v28
	s_delay_alu instid0(VALU_DEP_2) | instskip(NEXT) | instid1(VALU_DEP_4)
	v_add_co_ci_u32_e32 v48, vcc_lo, v43, v29, vcc_lo
	v_add_co_ci_u32_e32 v47, vcc_lo, 0, v47, vcc_lo
	s_delay_alu instid0(VALU_DEP_1) | instskip(NEXT) | instid1(VALU_DEP_1)
	v_add_nc_u64_e32 v[28:29], v[48:49], v[46:47]
	v_mul_u64_e32 v[42:43], s[42:43], v[28:29]
	s_delay_alu instid0(VALU_DEP_1) | instskip(SKIP_1) | instid1(VALU_DEP_3)
	v_sub_co_u32 v15, vcc_lo, v40, v42
	v_add_nc_u64_e32 v[40:41], 2, v[28:29]
	v_sub_nc_u32_e32 v1, v44, v43
	v_sub_co_ci_u32_e64 v27, null, v44, v43, vcc_lo
	s_delay_alu instid0(VALU_DEP_4) | instskip(NEXT) | instid1(VALU_DEP_3)
	v_sub_co_u32 v25, s3, v15, s42
	v_subrev_co_ci_u32_e64 v1, null, s43, v1, vcc_lo
	v_add_nc_u64_e32 v[42:43], 1, v[28:29]
	s_delay_alu instid0(VALU_DEP_3) | instskip(NEXT) | instid1(VALU_DEP_3)
	v_cmp_le_u32_e32 vcc_lo, s42, v25
	v_subrev_co_ci_u32_e64 v1, null, 0, v1, s3
	v_cndmask_b32_e64 v25, 0, -1, vcc_lo
	s_delay_alu instid0(VALU_DEP_2)
	v_cmp_le_u32_e32 vcc_lo, s43, v1
	v_cndmask_b32_e64 v31, 0, -1, vcc_lo
	v_cmp_le_u32_e32 vcc_lo, s42, v15
	v_cndmask_b32_e64 v15, 0, -1, vcc_lo
	;; [unrolled: 2-line block ×3, first 2 shown]
	v_cmp_eq_u32_e32 vcc_lo, s43, v1
	v_cndmask_b32_e32 v1, v31, v25, vcc_lo
	v_cmp_eq_u32_e32 vcc_lo, s43, v27
	s_delay_alu instid0(VALU_DEP_4) | instskip(NEXT) | instid1(VALU_DEP_3)
	v_dual_mov_b32 v31, v30 :: v_dual_cndmask_b32 v15, v39, v15, vcc_lo
	v_cmp_ne_u32_e32 vcc_lo, 0, v1
	s_delay_alu instid0(VALU_DEP_2) | instskip(SKIP_1) | instid1(VALU_DEP_1)
	v_cmp_ne_u32_e64 s3, 0, v15
	v_dual_cndmask_b32 v15, v42, v40, vcc_lo :: v_dual_cndmask_b32 v1, v43, v41, vcc_lo
	v_dual_cndmask_b32 v15, v28, v15, s3 :: v_dual_cndmask_b32 v1, v29, v1, s3
	s_delay_alu instid0(VALU_DEP_1) | instskip(NEXT) | instid1(VALU_DEP_2)
	v_xor_b32_e32 v28, v15, v30
	v_xor_b32_e32 v29, v1, v30
                                        ; implicit-def: $vgpr15
	s_delay_alu instid0(VALU_DEP_1)
	v_sub_nc_u64_e32 v[30:31], v[28:29], v[30:31]
                                        ; implicit-def: $vgpr28_vgpr29
.LBB11_79:                              ;   in Loop: Header=BB11_69 Depth=5
	s_and_not1_saveexec_b32 s3, s48
	s_cbranch_execz .LBB11_68
; %bb.80:                               ;   in Loop: Header=BB11_69 Depth=5
	v_rcp_iflag_f32_e32 v1, v15
	s_sub_co_i32 s14, 0, s22
	v_nop
	s_delay_alu instid0(TRANS32_DEP_1) | instskip(NEXT) | instid1(VALU_DEP_1)
	v_mul_f32_e32 v1, 0x4f7ffffe, v1
	v_cvt_u32_f32_e32 v1, v1
	s_delay_alu instid0(VALU_DEP_1) | instskip(NEXT) | instid1(VALU_DEP_1)
	v_mul_lo_u32 v15, s14, v1
	v_mul_hi_u32 v15, v1, v15
	s_delay_alu instid0(VALU_DEP_1) | instskip(NEXT) | instid1(VALU_DEP_1)
	v_add_nc_u32_e32 v1, v1, v15
	v_mul_hi_u32 v1, v28, v1
	s_delay_alu instid0(VALU_DEP_1) | instskip(NEXT) | instid1(VALU_DEP_1)
	v_mul_lo_u32 v15, v1, s22
	v_sub_nc_u32_e32 v15, v28, v15
	s_delay_alu instid0(VALU_DEP_1) | instskip(SKIP_1) | instid1(VALU_DEP_2)
	v_subrev_nc_u32_e32 v27, s22, v15
	v_cmp_le_u32_e32 vcc_lo, s22, v15
	v_dual_add_nc_u32 v25, 1, v1 :: v_dual_cndmask_b32 v15, v15, v27, vcc_lo
	s_delay_alu instid0(VALU_DEP_1) | instskip(NEXT) | instid1(VALU_DEP_2)
	v_cndmask_b32_e32 v1, v1, v25, vcc_lo
	v_cmp_le_u32_e32 vcc_lo, s22, v15
	s_delay_alu instid0(VALU_DEP_2) | instskip(NEXT) | instid1(VALU_DEP_1)
	v_add_nc_u32_e32 v25, 1, v1
	v_cndmask_b32_e32 v30, v1, v25, vcc_lo
	s_branch .LBB11_68
.LBB11_81:                              ;   in Loop: Header=BB11_42 Depth=3
                                        ; implicit-def: $sgpr40_sgpr41
	v_cvt_f32_u32_e32 v1, s12
	s_delay_alu instid0(VALU_DEP_1)
	v_rcp_iflag_f32_e32 v1, v1
	s_branch .LBB11_44
.LBB11_82:                              ;   in Loop: Header=BB11_42 Depth=3
                                        ; implicit-def: $sgpr42_sgpr43
	s_branch .LBB11_47
.LBB11_83:                              ;   in Loop: Header=BB11_42 Depth=3
                                        ; implicit-def: $sgpr46_sgpr47
	s_branch .LBB11_50
.LBB11_84:
	s_endpgm
.LBB11_85:
                                        ; implicit-def: $sgpr14_sgpr15
	v_cvt_f32_u32_e32 v1, s10
	s_branch .LBB11_2
.LBB11_86:
                                        ; implicit-def: $sgpr20_sgpr21
	s_branch .LBB11_5
.LBB11_87:
                                        ; implicit-def: $sgpr24_sgpr25
	s_load_b32 s21, s[0:1], 0x3c
	s_branch .LBB11_8
	.section	.rodata,"a",@progbits
	.p2align	6, 0x0
	.amdhsa_kernel _ZN2at6native12_GLOBAL__N_124adaptiveaveragegradinputIN3c108BFloat16EfEEvPT_PKS5_iiiiiil
		.amdhsa_group_segment_fixed_size 0
		.amdhsa_private_segment_fixed_size 0
		.amdhsa_kernarg_size 304
		.amdhsa_user_sgpr_count 2
		.amdhsa_user_sgpr_dispatch_ptr 0
		.amdhsa_user_sgpr_queue_ptr 0
		.amdhsa_user_sgpr_kernarg_segment_ptr 1
		.amdhsa_user_sgpr_dispatch_id 0
		.amdhsa_user_sgpr_kernarg_preload_length 0
		.amdhsa_user_sgpr_kernarg_preload_offset 0
		.amdhsa_user_sgpr_private_segment_size 0
		.amdhsa_wavefront_size32 1
		.amdhsa_uses_dynamic_stack 0
		.amdhsa_enable_private_segment 0
		.amdhsa_system_sgpr_workgroup_id_x 1
		.amdhsa_system_sgpr_workgroup_id_y 1
		.amdhsa_system_sgpr_workgroup_id_z 0
		.amdhsa_system_sgpr_workgroup_info 0
		.amdhsa_system_vgpr_workitem_id 1
		.amdhsa_next_free_vgpr 50
		.amdhsa_next_free_sgpr 68
		.amdhsa_named_barrier_count 0
		.amdhsa_reserve_vcc 1
		.amdhsa_float_round_mode_32 0
		.amdhsa_float_round_mode_16_64 0
		.amdhsa_float_denorm_mode_32 3
		.amdhsa_float_denorm_mode_16_64 3
		.amdhsa_fp16_overflow 0
		.amdhsa_memory_ordered 1
		.amdhsa_forward_progress 1
		.amdhsa_inst_pref_size 108
		.amdhsa_round_robin_scheduling 0
		.amdhsa_exception_fp_ieee_invalid_op 0
		.amdhsa_exception_fp_denorm_src 0
		.amdhsa_exception_fp_ieee_div_zero 0
		.amdhsa_exception_fp_ieee_overflow 0
		.amdhsa_exception_fp_ieee_underflow 0
		.amdhsa_exception_fp_ieee_inexact 0
		.amdhsa_exception_int_div_zero 0
	.end_amdhsa_kernel
	.section	.text._ZN2at6native12_GLOBAL__N_124adaptiveaveragegradinputIN3c108BFloat16EfEEvPT_PKS5_iiiiiil,"axG",@progbits,_ZN2at6native12_GLOBAL__N_124adaptiveaveragegradinputIN3c108BFloat16EfEEvPT_PKS5_iiiiiil,comdat
.Lfunc_end11:
	.size	_ZN2at6native12_GLOBAL__N_124adaptiveaveragegradinputIN3c108BFloat16EfEEvPT_PKS5_iiiiiil, .Lfunc_end11-_ZN2at6native12_GLOBAL__N_124adaptiveaveragegradinputIN3c108BFloat16EfEEvPT_PKS5_iiiiiil
                                        ; -- End function
	.set _ZN2at6native12_GLOBAL__N_124adaptiveaveragegradinputIN3c108BFloat16EfEEvPT_PKS5_iiiiiil.num_vgpr, 50
	.set _ZN2at6native12_GLOBAL__N_124adaptiveaveragegradinputIN3c108BFloat16EfEEvPT_PKS5_iiiiiil.num_agpr, 0
	.set _ZN2at6native12_GLOBAL__N_124adaptiveaveragegradinputIN3c108BFloat16EfEEvPT_PKS5_iiiiiil.numbered_sgpr, 68
	.set _ZN2at6native12_GLOBAL__N_124adaptiveaveragegradinputIN3c108BFloat16EfEEvPT_PKS5_iiiiiil.num_named_barrier, 0
	.set _ZN2at6native12_GLOBAL__N_124adaptiveaveragegradinputIN3c108BFloat16EfEEvPT_PKS5_iiiiiil.private_seg_size, 0
	.set _ZN2at6native12_GLOBAL__N_124adaptiveaveragegradinputIN3c108BFloat16EfEEvPT_PKS5_iiiiiil.uses_vcc, 1
	.set _ZN2at6native12_GLOBAL__N_124adaptiveaveragegradinputIN3c108BFloat16EfEEvPT_PKS5_iiiiiil.uses_flat_scratch, 0
	.set _ZN2at6native12_GLOBAL__N_124adaptiveaveragegradinputIN3c108BFloat16EfEEvPT_PKS5_iiiiiil.has_dyn_sized_stack, 0
	.set _ZN2at6native12_GLOBAL__N_124adaptiveaveragegradinputIN3c108BFloat16EfEEvPT_PKS5_iiiiiil.has_recursion, 0
	.set _ZN2at6native12_GLOBAL__N_124adaptiveaveragegradinputIN3c108BFloat16EfEEvPT_PKS5_iiiiiil.has_indirect_call, 0
	.section	.AMDGPU.csdata,"",@progbits
; Kernel info:
; codeLenInByte = 13736
; TotalNumSgprs: 70
; NumVgprs: 50
; ScratchSize: 0
; MemoryBound: 0
; FloatMode: 240
; IeeeMode: 1
; LDSByteSize: 0 bytes/workgroup (compile time only)
; SGPRBlocks: 0
; VGPRBlocks: 3
; NumSGPRsForWavesPerEU: 70
; NumVGPRsForWavesPerEU: 50
; NamedBarCnt: 0
; Occupancy: 16
; WaveLimiterHint : 0
; COMPUTE_PGM_RSRC2:SCRATCH_EN: 0
; COMPUTE_PGM_RSRC2:USER_SGPR: 2
; COMPUTE_PGM_RSRC2:TRAP_HANDLER: 0
; COMPUTE_PGM_RSRC2:TGID_X_EN: 1
; COMPUTE_PGM_RSRC2:TGID_Y_EN: 1
; COMPUTE_PGM_RSRC2:TGID_Z_EN: 0
; COMPUTE_PGM_RSRC2:TIDIG_COMP_CNT: 1
	.section	.AMDGPU.gpr_maximums,"",@progbits
	.set amdgpu.max_num_vgpr, 0
	.set amdgpu.max_num_agpr, 0
	.set amdgpu.max_num_sgpr, 0
	.section	.AMDGPU.csdata,"",@progbits
	.type	__hip_cuid_724ab23c9294c543,@object ; @__hip_cuid_724ab23c9294c543
	.section	.bss,"aw",@nobits
	.globl	__hip_cuid_724ab23c9294c543
__hip_cuid_724ab23c9294c543:
	.byte	0                               ; 0x0
	.size	__hip_cuid_724ab23c9294c543, 1

	.ident	"AMD clang version 22.0.0git (https://github.com/RadeonOpenCompute/llvm-project roc-7.2.4 26084 f58b06dce1f9c15707c5f808fd002e18c2accf7e)"
	.section	".note.GNU-stack","",@progbits
	.addrsig
	.addrsig_sym __hip_cuid_724ab23c9294c543
	.amdgpu_metadata
---
amdhsa.kernels:
  - .args:
      - .address_space:  global
        .offset:         0
        .size:           8
        .value_kind:     global_buffer
      - .address_space:  global
        .offset:         8
        .size:           8
        .value_kind:     global_buffer
      - .offset:         16
        .size:           4
        .value_kind:     by_value
      - .offset:         20
        .size:           4
        .value_kind:     by_value
      - .offset:         24
        .size:           4
        .value_kind:     by_value
      - .offset:         28
        .size:           4
        .value_kind:     by_value
      - .offset:         32
        .size:           4
        .value_kind:     by_value
      - .offset:         36
        .size:           4
        .value_kind:     by_value
      - .offset:         40
        .size:           8
        .value_kind:     by_value
      - .offset:         48
        .size:           8
        .value_kind:     by_value
      - .offset:         56
        .size:           8
        .value_kind:     by_value
      - .offset:         64
        .size:           8
        .value_kind:     by_value
      - .offset:         72
        .size:           8
        .value_kind:     by_value
      - .offset:         80
        .size:           8
        .value_kind:     by_value
      - .offset:         88
        .size:           8
        .value_kind:     by_value
      - .offset:         96
        .size:           4
        .value_kind:     hidden_block_count_x
      - .offset:         100
        .size:           4
        .value_kind:     hidden_block_count_y
      - .offset:         104
        .size:           4
        .value_kind:     hidden_block_count_z
      - .offset:         108
        .size:           2
        .value_kind:     hidden_group_size_x
      - .offset:         110
        .size:           2
        .value_kind:     hidden_group_size_y
      - .offset:         112
        .size:           2
        .value_kind:     hidden_group_size_z
      - .offset:         114
        .size:           2
        .value_kind:     hidden_remainder_x
      - .offset:         116
        .size:           2
        .value_kind:     hidden_remainder_y
      - .offset:         118
        .size:           2
        .value_kind:     hidden_remainder_z
      - .offset:         136
        .size:           8
        .value_kind:     hidden_global_offset_x
      - .offset:         144
        .size:           8
        .value_kind:     hidden_global_offset_y
      - .offset:         152
        .size:           8
        .value_kind:     hidden_global_offset_z
      - .offset:         160
        .size:           2
        .value_kind:     hidden_grid_dims
    .group_segment_fixed_size: 0
    .kernarg_segment_align: 8
    .kernarg_segment_size: 352
    .language:       OpenCL C
    .language_version:
      - 2
      - 0
    .max_flat_workgroup_size: 1024
    .name:           _ZN2at6native12_GLOBAL__N_119adaptiveaveragepoolIddEEvPKT_PS3_iiiiiilllllll
    .private_segment_fixed_size: 0
    .sgpr_count:     58
    .sgpr_spill_count: 0
    .symbol:         _ZN2at6native12_GLOBAL__N_119adaptiveaveragepoolIddEEvPKT_PS3_iiiiiilllllll.kd
    .uniform_work_group_size: 1
    .uses_dynamic_stack: false
    .vgpr_count:     30
    .vgpr_spill_count: 0
    .wavefront_size: 32
  - .args:
      - .address_space:  global
        .offset:         0
        .size:           8
        .value_kind:     global_buffer
      - .address_space:  global
        .offset:         8
        .size:           8
        .value_kind:     global_buffer
      - .offset:         16
        .size:           4
        .value_kind:     by_value
      - .offset:         20
        .size:           4
        .value_kind:     by_value
      - .offset:         24
        .size:           4
        .value_kind:     by_value
      - .offset:         28
        .size:           4
        .value_kind:     by_value
      - .offset:         32
        .size:           4
        .value_kind:     by_value
      - .offset:         36
        .size:           4
        .value_kind:     by_value
      - .offset:         40
        .size:           8
        .value_kind:     by_value
      - .offset:         48
        .size:           8
        .value_kind:     by_value
      - .offset:         56
        .size:           8
        .value_kind:     by_value
      - .offset:         64
        .size:           8
        .value_kind:     by_value
      - .offset:         72
        .size:           8
        .value_kind:     by_value
      - .offset:         80
        .size:           8
        .value_kind:     by_value
      - .offset:         88
        .size:           8
        .value_kind:     by_value
      - .offset:         96
        .size:           4
        .value_kind:     hidden_block_count_x
      - .offset:         100
        .size:           4
        .value_kind:     hidden_block_count_y
      - .offset:         104
        .size:           4
        .value_kind:     hidden_block_count_z
      - .offset:         108
        .size:           2
        .value_kind:     hidden_group_size_x
      - .offset:         110
        .size:           2
        .value_kind:     hidden_group_size_y
      - .offset:         112
        .size:           2
        .value_kind:     hidden_group_size_z
      - .offset:         114
        .size:           2
        .value_kind:     hidden_remainder_x
      - .offset:         116
        .size:           2
        .value_kind:     hidden_remainder_y
      - .offset:         118
        .size:           2
        .value_kind:     hidden_remainder_z
      - .offset:         136
        .size:           8
        .value_kind:     hidden_global_offset_x
      - .offset:         144
        .size:           8
        .value_kind:     hidden_global_offset_y
      - .offset:         152
        .size:           8
        .value_kind:     hidden_global_offset_z
      - .offset:         160
        .size:           2
        .value_kind:     hidden_grid_dims
    .group_segment_fixed_size: 0
    .kernarg_segment_align: 8
    .kernarg_segment_size: 352
    .language:       OpenCL C
    .language_version:
      - 2
      - 0
    .max_flat_workgroup_size: 1024
    .name:           _ZN2at6native12_GLOBAL__N_119adaptiveaveragepoolIffEEvPKT_PS3_iiiiiilllllll
    .private_segment_fixed_size: 0
    .sgpr_count:     58
    .sgpr_spill_count: 0
    .symbol:         _ZN2at6native12_GLOBAL__N_119adaptiveaveragepoolIffEEvPKT_PS3_iiiiiilllllll.kd
    .uniform_work_group_size: 1
    .uses_dynamic_stack: false
    .vgpr_count:     30
    .vgpr_spill_count: 0
    .wavefront_size: 32
  - .args:
      - .address_space:  global
        .offset:         0
        .size:           8
        .value_kind:     global_buffer
      - .address_space:  global
        .offset:         8
        .size:           8
        .value_kind:     global_buffer
      - .offset:         16
        .size:           4
        .value_kind:     by_value
      - .offset:         20
        .size:           4
        .value_kind:     by_value
      - .offset:         24
        .size:           4
        .value_kind:     by_value
      - .offset:         28
        .size:           4
        .value_kind:     by_value
      - .offset:         32
        .size:           4
        .value_kind:     by_value
      - .offset:         36
        .size:           4
        .value_kind:     by_value
      - .offset:         40
        .size:           8
        .value_kind:     by_value
      - .offset:         48
        .size:           8
        .value_kind:     by_value
      - .offset:         56
        .size:           8
        .value_kind:     by_value
      - .offset:         64
        .size:           8
        .value_kind:     by_value
      - .offset:         72
        .size:           8
        .value_kind:     by_value
      - .offset:         80
        .size:           8
        .value_kind:     by_value
      - .offset:         88
        .size:           8
        .value_kind:     by_value
      - .offset:         96
        .size:           4
        .value_kind:     hidden_block_count_x
      - .offset:         100
        .size:           4
        .value_kind:     hidden_block_count_y
      - .offset:         104
        .size:           4
        .value_kind:     hidden_block_count_z
      - .offset:         108
        .size:           2
        .value_kind:     hidden_group_size_x
      - .offset:         110
        .size:           2
        .value_kind:     hidden_group_size_y
      - .offset:         112
        .size:           2
        .value_kind:     hidden_group_size_z
      - .offset:         114
        .size:           2
        .value_kind:     hidden_remainder_x
      - .offset:         116
        .size:           2
        .value_kind:     hidden_remainder_y
      - .offset:         118
        .size:           2
        .value_kind:     hidden_remainder_z
      - .offset:         136
        .size:           8
        .value_kind:     hidden_global_offset_x
      - .offset:         144
        .size:           8
        .value_kind:     hidden_global_offset_y
      - .offset:         152
        .size:           8
        .value_kind:     hidden_global_offset_z
      - .offset:         160
        .size:           2
        .value_kind:     hidden_grid_dims
    .group_segment_fixed_size: 0
    .kernarg_segment_align: 8
    .kernarg_segment_size: 352
    .language:       OpenCL C
    .language_version:
      - 2
      - 0
    .max_flat_workgroup_size: 1024
    .name:           _ZN2at6native12_GLOBAL__N_119adaptiveaveragepoolIN3c104HalfEfEEvPKT_PS5_iiiiiilllllll
    .private_segment_fixed_size: 0
    .sgpr_count:     58
    .sgpr_spill_count: 0
    .symbol:         _ZN2at6native12_GLOBAL__N_119adaptiveaveragepoolIN3c104HalfEfEEvPKT_PS5_iiiiiilllllll.kd
    .uniform_work_group_size: 1
    .uses_dynamic_stack: false
    .vgpr_count:     30
    .vgpr_spill_count: 0
    .wavefront_size: 32
  - .args:
      - .address_space:  global
        .offset:         0
        .size:           8
        .value_kind:     global_buffer
      - .address_space:  global
        .offset:         8
        .size:           8
        .value_kind:     global_buffer
      - .offset:         16
        .size:           4
        .value_kind:     by_value
      - .offset:         20
        .size:           4
        .value_kind:     by_value
      - .offset:         24
        .size:           4
        .value_kind:     by_value
      - .offset:         28
        .size:           4
        .value_kind:     by_value
      - .offset:         32
        .size:           4
        .value_kind:     by_value
      - .offset:         36
        .size:           4
        .value_kind:     by_value
      - .offset:         40
        .size:           8
        .value_kind:     by_value
      - .offset:         48
        .size:           8
        .value_kind:     by_value
      - .offset:         56
        .size:           8
        .value_kind:     by_value
      - .offset:         64
        .size:           8
        .value_kind:     by_value
      - .offset:         72
        .size:           8
        .value_kind:     by_value
      - .offset:         80
        .size:           8
        .value_kind:     by_value
      - .offset:         88
        .size:           8
        .value_kind:     by_value
      - .offset:         96
        .size:           4
        .value_kind:     hidden_block_count_x
      - .offset:         100
        .size:           4
        .value_kind:     hidden_block_count_y
      - .offset:         104
        .size:           4
        .value_kind:     hidden_block_count_z
      - .offset:         108
        .size:           2
        .value_kind:     hidden_group_size_x
      - .offset:         110
        .size:           2
        .value_kind:     hidden_group_size_y
      - .offset:         112
        .size:           2
        .value_kind:     hidden_group_size_z
      - .offset:         114
        .size:           2
        .value_kind:     hidden_remainder_x
      - .offset:         116
        .size:           2
        .value_kind:     hidden_remainder_y
      - .offset:         118
        .size:           2
        .value_kind:     hidden_remainder_z
      - .offset:         136
        .size:           8
        .value_kind:     hidden_global_offset_x
      - .offset:         144
        .size:           8
        .value_kind:     hidden_global_offset_y
      - .offset:         152
        .size:           8
        .value_kind:     hidden_global_offset_z
      - .offset:         160
        .size:           2
        .value_kind:     hidden_grid_dims
    .group_segment_fixed_size: 0
    .kernarg_segment_align: 8
    .kernarg_segment_size: 352
    .language:       OpenCL C
    .language_version:
      - 2
      - 0
    .max_flat_workgroup_size: 1024
    .name:           _ZN2at6native12_GLOBAL__N_119adaptiveaveragepoolIN3c108BFloat16EfEEvPKT_PS5_iiiiiilllllll
    .private_segment_fixed_size: 0
    .sgpr_count:     58
    .sgpr_spill_count: 0
    .symbol:         _ZN2at6native12_GLOBAL__N_119adaptiveaveragepoolIN3c108BFloat16EfEEvPKT_PS5_iiiiiilllllll.kd
    .uniform_work_group_size: 1
    .uses_dynamic_stack: false
    .vgpr_count:     30
    .vgpr_spill_count: 0
    .wavefront_size: 32
  - .args:
      - .address_space:  global
        .offset:         0
        .size:           8
        .value_kind:     global_buffer
      - .address_space:  global
        .offset:         8
        .size:           8
        .value_kind:     global_buffer
      - .offset:         16
        .size:           4
        .value_kind:     by_value
      - .offset:         20
        .size:           4
        .value_kind:     by_value
      - .offset:         24
        .size:           4
        .value_kind:     by_value
      - .offset:         28
        .size:           4
        .value_kind:     by_value
      - .offset:         32
        .size:           4
        .value_kind:     by_value
      - .offset:         36
        .size:           4
        .value_kind:     by_value
      - .offset:         40
        .size:           8
        .value_kind:     by_value
      - .offset:         48
        .size:           4
        .value_kind:     hidden_block_count_x
      - .offset:         52
        .size:           4
        .value_kind:     hidden_block_count_y
      - .offset:         56
        .size:           4
        .value_kind:     hidden_block_count_z
      - .offset:         60
        .size:           2
        .value_kind:     hidden_group_size_x
      - .offset:         62
        .size:           2
        .value_kind:     hidden_group_size_y
      - .offset:         64
        .size:           2
        .value_kind:     hidden_group_size_z
      - .offset:         66
        .size:           2
        .value_kind:     hidden_remainder_x
      - .offset:         68
        .size:           2
        .value_kind:     hidden_remainder_y
      - .offset:         70
        .size:           2
        .value_kind:     hidden_remainder_z
      - .offset:         88
        .size:           8
        .value_kind:     hidden_global_offset_x
      - .offset:         96
        .size:           8
        .value_kind:     hidden_global_offset_y
      - .offset:         104
        .size:           8
        .value_kind:     hidden_global_offset_z
      - .offset:         112
        .size:           2
        .value_kind:     hidden_grid_dims
    .group_segment_fixed_size: 0
    .kernarg_segment_align: 8
    .kernarg_segment_size: 304
    .language:       OpenCL C
    .language_version:
      - 2
      - 0
    .max_flat_workgroup_size: 1024
    .name:           _ZN2at6native12_GLOBAL__N_130atomicadaptiveaveragegradinputIdEEvPT_PKS3_iiiiiil
    .private_segment_fixed_size: 0
    .sgpr_count:     53
    .sgpr_spill_count: 0
    .symbol:         _ZN2at6native12_GLOBAL__N_130atomicadaptiveaveragegradinputIdEEvPT_PKS3_iiiiiil.kd
    .uniform_work_group_size: 1
    .uses_dynamic_stack: false
    .vgpr_count:     34
    .vgpr_spill_count: 0
    .wavefront_size: 32
  - .args:
      - .address_space:  global
        .offset:         0
        .size:           8
        .value_kind:     global_buffer
      - .address_space:  global
        .offset:         8
        .size:           8
        .value_kind:     global_buffer
      - .offset:         16
        .size:           4
        .value_kind:     by_value
      - .offset:         20
        .size:           4
        .value_kind:     by_value
      - .offset:         24
        .size:           4
        .value_kind:     by_value
      - .offset:         28
        .size:           4
        .value_kind:     by_value
      - .offset:         32
        .size:           4
        .value_kind:     by_value
      - .offset:         36
        .size:           4
        .value_kind:     by_value
      - .offset:         40
        .size:           8
        .value_kind:     by_value
      - .offset:         48
        .size:           4
        .value_kind:     hidden_block_count_x
      - .offset:         52
        .size:           4
        .value_kind:     hidden_block_count_y
      - .offset:         56
        .size:           4
        .value_kind:     hidden_block_count_z
      - .offset:         60
        .size:           2
        .value_kind:     hidden_group_size_x
      - .offset:         62
        .size:           2
        .value_kind:     hidden_group_size_y
      - .offset:         64
        .size:           2
        .value_kind:     hidden_group_size_z
      - .offset:         66
        .size:           2
        .value_kind:     hidden_remainder_x
      - .offset:         68
        .size:           2
        .value_kind:     hidden_remainder_y
      - .offset:         70
        .size:           2
        .value_kind:     hidden_remainder_z
      - .offset:         88
        .size:           8
        .value_kind:     hidden_global_offset_x
      - .offset:         96
        .size:           8
        .value_kind:     hidden_global_offset_y
      - .offset:         104
        .size:           8
        .value_kind:     hidden_global_offset_z
      - .offset:         112
        .size:           2
        .value_kind:     hidden_grid_dims
    .group_segment_fixed_size: 0
    .kernarg_segment_align: 8
    .kernarg_segment_size: 304
    .language:       OpenCL C
    .language_version:
      - 2
      - 0
    .max_flat_workgroup_size: 1024
    .name:           _ZN2at6native12_GLOBAL__N_130atomicadaptiveaveragegradinputIfEEvPT_PKS3_iiiiiil
    .private_segment_fixed_size: 0
    .sgpr_count:     54
    .sgpr_spill_count: 0
    .symbol:         _ZN2at6native12_GLOBAL__N_130atomicadaptiveaveragegradinputIfEEvPT_PKS3_iiiiiil.kd
    .uniform_work_group_size: 1
    .uses_dynamic_stack: false
    .vgpr_count:     30
    .vgpr_spill_count: 0
    .wavefront_size: 32
  - .args:
      - .address_space:  global
        .offset:         0
        .size:           8
        .value_kind:     global_buffer
      - .address_space:  global
        .offset:         8
        .size:           8
        .value_kind:     global_buffer
      - .offset:         16
        .size:           4
        .value_kind:     by_value
      - .offset:         20
        .size:           4
        .value_kind:     by_value
      - .offset:         24
        .size:           4
        .value_kind:     by_value
      - .offset:         28
        .size:           4
        .value_kind:     by_value
      - .offset:         32
        .size:           4
        .value_kind:     by_value
      - .offset:         36
        .size:           4
        .value_kind:     by_value
      - .offset:         40
        .size:           8
        .value_kind:     by_value
      - .offset:         48
        .size:           4
        .value_kind:     hidden_block_count_x
      - .offset:         52
        .size:           4
        .value_kind:     hidden_block_count_y
      - .offset:         56
        .size:           4
        .value_kind:     hidden_block_count_z
      - .offset:         60
        .size:           2
        .value_kind:     hidden_group_size_x
      - .offset:         62
        .size:           2
        .value_kind:     hidden_group_size_y
      - .offset:         64
        .size:           2
        .value_kind:     hidden_group_size_z
      - .offset:         66
        .size:           2
        .value_kind:     hidden_remainder_x
      - .offset:         68
        .size:           2
        .value_kind:     hidden_remainder_y
      - .offset:         70
        .size:           2
        .value_kind:     hidden_remainder_z
      - .offset:         88
        .size:           8
        .value_kind:     hidden_global_offset_x
      - .offset:         96
        .size:           8
        .value_kind:     hidden_global_offset_y
      - .offset:         104
        .size:           8
        .value_kind:     hidden_global_offset_z
      - .offset:         112
        .size:           2
        .value_kind:     hidden_grid_dims
    .group_segment_fixed_size: 0
    .kernarg_segment_align: 8
    .kernarg_segment_size: 304
    .language:       OpenCL C
    .language_version:
      - 2
      - 0
    .max_flat_workgroup_size: 1024
    .name:           _ZN2at6native12_GLOBAL__N_130atomicadaptiveaveragegradinputIN3c104HalfEEEvPT_PKS5_iiiiiil
    .private_segment_fixed_size: 0
    .sgpr_count:     54
    .sgpr_spill_count: 0
    .symbol:         _ZN2at6native12_GLOBAL__N_130atomicadaptiveaveragegradinputIN3c104HalfEEEvPT_PKS5_iiiiiil.kd
    .uniform_work_group_size: 1
    .uses_dynamic_stack: false
    .vgpr_count:     30
    .vgpr_spill_count: 0
    .wavefront_size: 32
  - .args:
      - .address_space:  global
        .offset:         0
        .size:           8
        .value_kind:     global_buffer
      - .address_space:  global
        .offset:         8
        .size:           8
        .value_kind:     global_buffer
      - .offset:         16
        .size:           4
        .value_kind:     by_value
      - .offset:         20
        .size:           4
        .value_kind:     by_value
      - .offset:         24
        .size:           4
        .value_kind:     by_value
      - .offset:         28
        .size:           4
        .value_kind:     by_value
      - .offset:         32
        .size:           4
        .value_kind:     by_value
      - .offset:         36
        .size:           4
        .value_kind:     by_value
      - .offset:         40
        .size:           8
        .value_kind:     by_value
      - .offset:         48
        .size:           4
        .value_kind:     hidden_block_count_x
      - .offset:         52
        .size:           4
        .value_kind:     hidden_block_count_y
      - .offset:         56
        .size:           4
        .value_kind:     hidden_block_count_z
      - .offset:         60
        .size:           2
        .value_kind:     hidden_group_size_x
      - .offset:         62
        .size:           2
        .value_kind:     hidden_group_size_y
      - .offset:         64
        .size:           2
        .value_kind:     hidden_group_size_z
      - .offset:         66
        .size:           2
        .value_kind:     hidden_remainder_x
      - .offset:         68
        .size:           2
        .value_kind:     hidden_remainder_y
      - .offset:         70
        .size:           2
        .value_kind:     hidden_remainder_z
      - .offset:         88
        .size:           8
        .value_kind:     hidden_global_offset_x
      - .offset:         96
        .size:           8
        .value_kind:     hidden_global_offset_y
      - .offset:         104
        .size:           8
        .value_kind:     hidden_global_offset_z
      - .offset:         112
        .size:           2
        .value_kind:     hidden_grid_dims
    .group_segment_fixed_size: 0
    .kernarg_segment_align: 8
    .kernarg_segment_size: 304
    .language:       OpenCL C
    .language_version:
      - 2
      - 0
    .max_flat_workgroup_size: 1024
    .name:           _ZN2at6native12_GLOBAL__N_130atomicadaptiveaveragegradinputIN3c108BFloat16EEEvPT_PKS5_iiiiiil
    .private_segment_fixed_size: 0
    .sgpr_count:     54
    .sgpr_spill_count: 0
    .symbol:         _ZN2at6native12_GLOBAL__N_130atomicadaptiveaveragegradinputIN3c108BFloat16EEEvPT_PKS5_iiiiiil.kd
    .uniform_work_group_size: 1
    .uses_dynamic_stack: false
    .vgpr_count:     30
    .vgpr_spill_count: 0
    .wavefront_size: 32
  - .args:
      - .address_space:  global
        .offset:         0
        .size:           8
        .value_kind:     global_buffer
      - .address_space:  global
        .offset:         8
        .size:           8
        .value_kind:     global_buffer
      - .offset:         16
        .size:           4
        .value_kind:     by_value
      - .offset:         20
        .size:           4
        .value_kind:     by_value
      - .offset:         24
        .size:           4
        .value_kind:     by_value
      - .offset:         28
        .size:           4
        .value_kind:     by_value
      - .offset:         32
        .size:           4
        .value_kind:     by_value
      - .offset:         36
        .size:           4
        .value_kind:     by_value
      - .offset:         40
        .size:           8
        .value_kind:     by_value
      - .offset:         48
        .size:           4
        .value_kind:     hidden_block_count_x
      - .offset:         52
        .size:           4
        .value_kind:     hidden_block_count_y
      - .offset:         56
        .size:           4
        .value_kind:     hidden_block_count_z
      - .offset:         60
        .size:           2
        .value_kind:     hidden_group_size_x
      - .offset:         62
        .size:           2
        .value_kind:     hidden_group_size_y
      - .offset:         64
        .size:           2
        .value_kind:     hidden_group_size_z
      - .offset:         66
        .size:           2
        .value_kind:     hidden_remainder_x
      - .offset:         68
        .size:           2
        .value_kind:     hidden_remainder_y
      - .offset:         70
        .size:           2
        .value_kind:     hidden_remainder_z
      - .offset:         88
        .size:           8
        .value_kind:     hidden_global_offset_x
      - .offset:         96
        .size:           8
        .value_kind:     hidden_global_offset_y
      - .offset:         104
        .size:           8
        .value_kind:     hidden_global_offset_z
      - .offset:         112
        .size:           2
        .value_kind:     hidden_grid_dims
    .group_segment_fixed_size: 0
    .kernarg_segment_align: 8
    .kernarg_segment_size: 304
    .language:       OpenCL C
    .language_version:
      - 2
      - 0
    .max_flat_workgroup_size: 1024
    .name:           _ZN2at6native12_GLOBAL__N_124adaptiveaveragegradinputIddEEvPT_PKS3_iiiiiil
    .private_segment_fixed_size: 0
    .sgpr_count:     70
    .sgpr_spill_count: 0
    .symbol:         _ZN2at6native12_GLOBAL__N_124adaptiveaveragegradinputIddEEvPT_PKS3_iiiiiil.kd
    .uniform_work_group_size: 1
    .uses_dynamic_stack: false
    .vgpr_count:     52
    .vgpr_spill_count: 0
    .wavefront_size: 32
  - .args:
      - .address_space:  global
        .offset:         0
        .size:           8
        .value_kind:     global_buffer
      - .address_space:  global
        .offset:         8
        .size:           8
        .value_kind:     global_buffer
      - .offset:         16
        .size:           4
        .value_kind:     by_value
      - .offset:         20
        .size:           4
        .value_kind:     by_value
      - .offset:         24
        .size:           4
        .value_kind:     by_value
      - .offset:         28
        .size:           4
        .value_kind:     by_value
      - .offset:         32
        .size:           4
        .value_kind:     by_value
      - .offset:         36
        .size:           4
        .value_kind:     by_value
      - .offset:         40
        .size:           8
        .value_kind:     by_value
      - .offset:         48
        .size:           4
        .value_kind:     hidden_block_count_x
      - .offset:         52
        .size:           4
        .value_kind:     hidden_block_count_y
      - .offset:         56
        .size:           4
        .value_kind:     hidden_block_count_z
      - .offset:         60
        .size:           2
        .value_kind:     hidden_group_size_x
      - .offset:         62
        .size:           2
        .value_kind:     hidden_group_size_y
      - .offset:         64
        .size:           2
        .value_kind:     hidden_group_size_z
      - .offset:         66
        .size:           2
        .value_kind:     hidden_remainder_x
      - .offset:         68
        .size:           2
        .value_kind:     hidden_remainder_y
      - .offset:         70
        .size:           2
        .value_kind:     hidden_remainder_z
      - .offset:         88
        .size:           8
        .value_kind:     hidden_global_offset_x
      - .offset:         96
        .size:           8
        .value_kind:     hidden_global_offset_y
      - .offset:         104
        .size:           8
        .value_kind:     hidden_global_offset_z
      - .offset:         112
        .size:           2
        .value_kind:     hidden_grid_dims
    .group_segment_fixed_size: 0
    .kernarg_segment_align: 8
    .kernarg_segment_size: 304
    .language:       OpenCL C
    .language_version:
      - 2
      - 0
    .max_flat_workgroup_size: 1024
    .name:           _ZN2at6native12_GLOBAL__N_124adaptiveaveragegradinputIffEEvPT_PKS3_iiiiiil
    .private_segment_fixed_size: 0
    .sgpr_count:     70
    .sgpr_spill_count: 0
    .symbol:         _ZN2at6native12_GLOBAL__N_124adaptiveaveragegradinputIffEEvPT_PKS3_iiiiiil.kd
    .uniform_work_group_size: 1
    .uses_dynamic_stack: false
    .vgpr_count:     50
    .vgpr_spill_count: 0
    .wavefront_size: 32
  - .args:
      - .address_space:  global
        .offset:         0
        .size:           8
        .value_kind:     global_buffer
      - .address_space:  global
        .offset:         8
        .size:           8
        .value_kind:     global_buffer
      - .offset:         16
        .size:           4
        .value_kind:     by_value
      - .offset:         20
        .size:           4
        .value_kind:     by_value
      - .offset:         24
        .size:           4
        .value_kind:     by_value
      - .offset:         28
        .size:           4
        .value_kind:     by_value
      - .offset:         32
        .size:           4
        .value_kind:     by_value
      - .offset:         36
        .size:           4
        .value_kind:     by_value
      - .offset:         40
        .size:           8
        .value_kind:     by_value
      - .offset:         48
        .size:           4
        .value_kind:     hidden_block_count_x
      - .offset:         52
        .size:           4
        .value_kind:     hidden_block_count_y
      - .offset:         56
        .size:           4
        .value_kind:     hidden_block_count_z
      - .offset:         60
        .size:           2
        .value_kind:     hidden_group_size_x
      - .offset:         62
        .size:           2
        .value_kind:     hidden_group_size_y
      - .offset:         64
        .size:           2
        .value_kind:     hidden_group_size_z
      - .offset:         66
        .size:           2
        .value_kind:     hidden_remainder_x
      - .offset:         68
        .size:           2
        .value_kind:     hidden_remainder_y
      - .offset:         70
        .size:           2
        .value_kind:     hidden_remainder_z
      - .offset:         88
        .size:           8
        .value_kind:     hidden_global_offset_x
      - .offset:         96
        .size:           8
        .value_kind:     hidden_global_offset_y
      - .offset:         104
        .size:           8
        .value_kind:     hidden_global_offset_z
      - .offset:         112
        .size:           2
        .value_kind:     hidden_grid_dims
    .group_segment_fixed_size: 0
    .kernarg_segment_align: 8
    .kernarg_segment_size: 304
    .language:       OpenCL C
    .language_version:
      - 2
      - 0
    .max_flat_workgroup_size: 1024
    .name:           _ZN2at6native12_GLOBAL__N_124adaptiveaveragegradinputIN3c104HalfEfEEvPT_PKS5_iiiiiil
    .private_segment_fixed_size: 0
    .sgpr_count:     70
    .sgpr_spill_count: 0
    .symbol:         _ZN2at6native12_GLOBAL__N_124adaptiveaveragegradinputIN3c104HalfEfEEvPT_PKS5_iiiiiil.kd
    .uniform_work_group_size: 1
    .uses_dynamic_stack: false
    .vgpr_count:     50
    .vgpr_spill_count: 0
    .wavefront_size: 32
  - .args:
      - .address_space:  global
        .offset:         0
        .size:           8
        .value_kind:     global_buffer
      - .address_space:  global
        .offset:         8
        .size:           8
        .value_kind:     global_buffer
      - .offset:         16
        .size:           4
        .value_kind:     by_value
      - .offset:         20
        .size:           4
        .value_kind:     by_value
      - .offset:         24
        .size:           4
        .value_kind:     by_value
      - .offset:         28
        .size:           4
        .value_kind:     by_value
      - .offset:         32
        .size:           4
        .value_kind:     by_value
      - .offset:         36
        .size:           4
        .value_kind:     by_value
      - .offset:         40
        .size:           8
        .value_kind:     by_value
      - .offset:         48
        .size:           4
        .value_kind:     hidden_block_count_x
      - .offset:         52
        .size:           4
        .value_kind:     hidden_block_count_y
      - .offset:         56
        .size:           4
        .value_kind:     hidden_block_count_z
      - .offset:         60
        .size:           2
        .value_kind:     hidden_group_size_x
      - .offset:         62
        .size:           2
        .value_kind:     hidden_group_size_y
      - .offset:         64
        .size:           2
        .value_kind:     hidden_group_size_z
      - .offset:         66
        .size:           2
        .value_kind:     hidden_remainder_x
      - .offset:         68
        .size:           2
        .value_kind:     hidden_remainder_y
      - .offset:         70
        .size:           2
        .value_kind:     hidden_remainder_z
      - .offset:         88
        .size:           8
        .value_kind:     hidden_global_offset_x
      - .offset:         96
        .size:           8
        .value_kind:     hidden_global_offset_y
      - .offset:         104
        .size:           8
        .value_kind:     hidden_global_offset_z
      - .offset:         112
        .size:           2
        .value_kind:     hidden_grid_dims
    .group_segment_fixed_size: 0
    .kernarg_segment_align: 8
    .kernarg_segment_size: 304
    .language:       OpenCL C
    .language_version:
      - 2
      - 0
    .max_flat_workgroup_size: 1024
    .name:           _ZN2at6native12_GLOBAL__N_124adaptiveaveragegradinputIN3c108BFloat16EfEEvPT_PKS5_iiiiiil
    .private_segment_fixed_size: 0
    .sgpr_count:     70
    .sgpr_spill_count: 0
    .symbol:         _ZN2at6native12_GLOBAL__N_124adaptiveaveragegradinputIN3c108BFloat16EfEEvPT_PKS5_iiiiiil.kd
    .uniform_work_group_size: 1
    .uses_dynamic_stack: false
    .vgpr_count:     50
    .vgpr_spill_count: 0
    .wavefront_size: 32
amdhsa.target:   amdgcn-amd-amdhsa--gfx1250
amdhsa.version:
  - 1
  - 2
...

	.end_amdgpu_metadata
